;; amdgpu-corpus repo=ROCm/Tensile kind=harvested arch=n/a opt=n/a

/******************************************/
/* Function Prefix                        */
/******************************************/



/******************************************/
/* Begin Kernel                           */
/******************************************/

// Component.Signature.SignatureDefault
.amdgcn_target "amdgcn-amd-amdhsa--gfx908"
.text
.protected Cijk_Ailk_Bjlk_SB_MT288x128x8_MI32x32x2x1_SE_1LDSB0_APM1_AF0EM1_AF1EM1_AMAS0_ASE_ASAE01_ASCE01_ASEM1_BL1_DTLA0_DTLB0_DVO0_EPS1_FL0_GLVWA1_GLVWB1_GRVW1_GSU1_GSUASB_ISA908_IU1_K1_KLA_LBSPPA0_LBSPPB0_LPA0_LPB0_LDL1_LRVW1_LDW0_MAC_MDA2_MMFGLC_NTC0_NTD0_NEPBS0_NLCA9_NLCB2_ONLL1_OPLV0_PK0_PAP0_PGR1_PLR1_SIA3_SS0_SU32_SUM0_SUS256_SPO0_SRVW0_SSO0_SVW4_SNLL0_TT9_32_TLDS0_UMLDSA0_UMLDSB0_USFGROn1_VAW1_VSn1_VW1_VWB1_WSGRA1_WSGRB1_WG32_8_1_WGM1
.globl Cijk_Ailk_Bjlk_SB_MT288x128x8_MI32x32x2x1_SE_1LDSB0_APM1_AF0EM1_AF1EM1_AMAS0_ASE_ASAE01_ASCE01_ASEM1_BL1_DTLA0_DTLB0_DVO0_EPS1_FL0_GLVWA1_GLVWB1_GRVW1_GSU1_GSUASB_ISA908_IU1_K1_KLA_LBSPPA0_LBSPPB0_LPA0_LPB0_LDL1_LRVW1_LDW0_MAC_MDA2_MMFGLC_NTC0_NTD0_NEPBS0_NLCA9_NLCB2_ONLL1_OPLV0_PK0_PAP0_PGR1_PLR1_SIA3_SS0_SU32_SUM0_SUS256_SPO0_SRVW0_SSO0_SVW4_SNLL0_TT9_32_TLDS0_UMLDSA0_UMLDSB0_USFGROn1_VAW1_VSn1_VW1_VWB1_WSGRA1_WSGRB1_WG32_8_1_WGM1
.p2align 8
.type Cijk_Ailk_Bjlk_SB_MT288x128x8_MI32x32x2x1_SE_1LDSB0_APM1_AF0EM1_AF1EM1_AMAS0_ASE_ASAE01_ASCE01_ASEM1_BL1_DTLA0_DTLB0_DVO0_EPS1_FL0_GLVWA1_GLVWB1_GRVW1_GSU1_GSUASB_ISA908_IU1_K1_KLA_LBSPPA0_LBSPPB0_LPA0_LPB0_LDL1_LRVW1_LDW0_MAC_MDA2_MMFGLC_NTC0_NTD0_NEPBS0_NLCA9_NLCB2_ONLL1_OPLV0_PK0_PAP0_PGR1_PLR1_SIA3_SS0_SU32_SUM0_SUS256_SPO0_SRVW0_SSO0_SVW4_SNLL0_TT9_32_TLDS0_UMLDSA0_UMLDSB0_USFGROn1_VAW1_VSn1_VW1_VWB1_WSGRA1_WSGRB1_WG32_8_1_WGM1,@function
.section .rodata,#alloc
.p2align 6
.amdhsa_kernel Cijk_Ailk_Bjlk_SB_MT288x128x8_MI32x32x2x1_SE_1LDSB0_APM1_AF0EM1_AF1EM1_AMAS0_ASE_ASAE01_ASCE01_ASEM1_BL1_DTLA0_DTLB0_DVO0_EPS1_FL0_GLVWA1_GLVWB1_GRVW1_GSU1_GSUASB_ISA908_IU1_K1_KLA_LBSPPA0_LBSPPB0_LPA0_LPB0_LDL1_LRVW1_LDW0_MAC_MDA2_MMFGLC_NTC0_NTD0_NEPBS0_NLCA9_NLCB2_ONLL1_OPLV0_PK0_PAP0_PGR1_PLR1_SIA3_SS0_SU32_SUM0_SUS256_SPO0_SRVW0_SSO0_SVW4_SNLL0_TT9_32_TLDS0_UMLDSA0_UMLDSB0_USFGROn1_VAW1_VSn1_VW1_VWB1_WSGRA1_WSGRB1_WG32_8_1_WGM1
  .amdhsa_user_sgpr_kernarg_segment_ptr 1
  .amdhsa_user_sgpr_count 2
  .amdhsa_next_free_vgpr 256 // vgprs
  .amdhsa_next_free_sgpr 72 // sgprs
  .amdhsa_group_segment_fixed_size 29696 // lds bytes
  .amdhsa_private_segment_fixed_size 0
  .amdhsa_system_sgpr_workgroup_id_x 1
  .amdhsa_system_sgpr_workgroup_id_y 1
  .amdhsa_system_sgpr_workgroup_id_z 1
  .amdhsa_system_vgpr_workitem_id 0
  .amdhsa_float_denorm_mode_32 3
  .amdhsa_float_denorm_mode_16_64 3
.end_amdhsa_kernel
.text

/******************************************/
/* Optimizations and Config:              */
/******************************************/
/* ThreadTile= 144 x 1 */
/* SubGroup= 2 x 128 */
/* VectorWidthA=1 */
/* VectorWidthB=1 */
/* GlobalLoadVectorWidthA=1, GlobalLoadVectorWidthB=1 */
/* DirectToLdsA=False */
/* DirectToLdsB=False */
/* UseSgprForGRO=1 */
.amdgpu_metadata
---
amdhsa.version:
  - 1
  - 1
amdhsa.target: amdgcn-amd-amdhsa--gfx908
amdhsa.kernels:
  - .name: Cijk_Ailk_Bjlk_SB_MT288x128x8_MI32x32x2x1_SE_1LDSB0_APM1_AF0EM1_AF1EM1_AMAS0_ASE_ASAE01_ASCE01_ASEM1_BL1_DTLA0_DTLB0_DVO0_EPS1_FL0_GLVWA1_GLVWB1_GRVW1_GSU1_GSUASB_ISA908_IU1_K1_KLA_LBSPPA0_LBSPPB0_LPA0_LPB0_LDL1_LRVW1_LDW0_MAC_MDA2_MMFGLC_NTC0_NTD0_NEPBS0_NLCA9_NLCB2_ONLL1_OPLV0_PK0_PAP0_PGR1_PLR1_SIA3_SS0_SU32_SUM0_SUS256_SPO0_SRVW0_SSO0_SVW4_SNLL0_TT9_32_TLDS0_UMLDSA0_UMLDSB0_USFGROn1_VAW1_VSn1_VW1_VWB1_WSGRA1_WSGRB1_WG32_8_1_WGM1
    .symbol: 'Cijk_Ailk_Bjlk_SB_MT288x128x8_MI32x32x2x1_SE_1LDSB0_APM1_AF0EM1_AF1EM1_AMAS0_ASE_ASAE01_ASCE01_ASEM1_BL1_DTLA0_DTLB0_DVO0_EPS1_FL0_GLVWA1_GLVWB1_GRVW1_GSU1_GSUASB_ISA908_IU1_K1_KLA_LBSPPA0_LBSPPB0_LPA0_LPB0_LDL1_LRVW1_LDW0_MAC_MDA2_MMFGLC_NTC0_NTD0_NEPBS0_NLCA9_NLCB2_ONLL1_OPLV0_PK0_PAP0_PGR1_PLR1_SIA3_SS0_SU32_SUM0_SUS256_SPO0_SRVW0_SSO0_SVW4_SNLL0_TT9_32_TLDS0_UMLDSA0_UMLDSB0_USFGROn1_VAW1_VSn1_VW1_VWB1_WSGRA1_WSGRB1_WG32_8_1_WGM1.kd'
    .language:                   OpenCL C
    .language_version:
      - 2
      - 0
    .args:
      - .name:            Tensor2dSizeA
        .size:            8
        .offset:          0
        .value_kind:      by_value
        .value_type:      u64
      - .name:            Tensor2dSizeB
        .size:            8
        .offset:          8
        .value_kind:      by_value
        .value_type:      u64
      - .name:            AddressD
        .size:            8
        .offset:          16
        .value_kind:      by_value
        .value_type:      u64
      - .name:            AddressC
        .size:            8
        .offset:          24
        .value_kind:      by_value
        .value_type:      u64
      - .name:            AddressA
        .size:            8
        .offset:          32
        .value_kind:      by_value
        .value_type:      u64
      - .name:            AddressB
        .size:            8
        .offset:          40
        .value_kind:      by_value
        .value_type:      u64
      - .name:            Alpha
        .size:            4
        .offset:          48
        .value_kind:      by_value
        .value_type:      u32
      - .name:            Beta
        .size:            4
        .offset:          52
        .value_kind:      by_value
        .value_type:      u32
      - .name:            StridesD
        .size:            8
        .offset:          56
        .value_kind:      by_value
        .value_type:      u64
      - .name:            StridesC
        .size:            8
        .offset:          64
        .value_kind:      by_value
        .value_type:      u64
      - .name:            StridesA
        .size:            8
        .offset:          72
        .value_kind:      by_value
        .value_type:      u64
      - .name:            StridesB
        .size:            8
        .offset:          80
        .value_kind:      by_value
        .value_type:      u64
      - .name:            SizesFree
        .size:            12
        .offset:          88
        .value_kind:      by_value
        .value_type:      u96
      - .name:            SizesSum
        .size:            4
        .offset:          100
        .value_kind:      by_value
        .value_type:      u32
      - .name:            OrigStaggerUIter
        .size:            4
        .offset:          104
        .value_kind:      by_value
        .value_type:      u32
      - .name:            NumWorkGroups0
        .size:            4
        .offset:          108
        .value_kind:      by_value
        .value_type:      u32
      - .name:            NumWorkGroups1
        .size:            4
        .offset:          112
        .value_kind:      by_value
        .value_type:      u32
    .group_segment_fixed_size:   29696
    .kernarg_segment_align:      8
    .kernarg_segment_size:       120
    .max_flat_workgroup_size:    256
    .private_segment_fixed_size: 0
    .sgpr_count:                 72
    .sgpr_spill_count:           0
    .vgpr_count:                 256
    .vgpr_spill_count:           0
    .wavefront_size:             64
...
.end_amdgpu_metadata
Cijk_Ailk_Bjlk_SB_MT288x128x8_MI32x32x2x1_SE_1LDSB0_APM1_AF0EM1_AF1EM1_AMAS0_ASE_ASAE01_ASCE01_ASEM1_BL1_DTLA0_DTLB0_DVO0_EPS1_FL0_GLVWA1_GLVWB1_GRVW1_GSU1_GSUASB_ISA908_IU1_K1_KLA_LBSPPA0_LBSPPB0_LPA0_LPB0_LDL1_LRVW1_LDW0_MAC_MDA2_MMFGLC_NTC0_NTD0_NEPBS0_NLCA9_NLCB2_ONLL1_OPLV0_PK0_PAP0_PGR1_PLR1_SIA3_SS0_SU32_SUM0_SUS256_SPO0_SRVW0_SSO0_SVW4_SNLL0_TT9_32_TLDS0_UMLDSA0_UMLDSB0_USFGROn1_VAW1_VSn1_VW1_VWB1_WSGRA1_WSGRB1_WG32_8_1_WGM1:

/******************************************/
/* Asm syntax workarounds                 */
/******************************************/
.macro _v_add_co_u32 dst:req, cc:req, src0:req, src1:req, dpp=
   v_add_co_u32 \dst, \cc, \src0, \src1 \dpp
.endm

.macro _v_add_u32 dst:req, src0:req, src1:req, dpp=
   v_add_u32 \dst, \src0, \src1 \dpp
.endm

.macro _v_add_i32 dst:req, src0:req, src1:req, dpp=
   v_add_i32 \dst, \src0, \src1 \dpp
.endm

.macro _v_addc_co_u32 dst:req, ccOut:req, src0:req, ccIn:req, src1:req, dpp=
   v_addc_co_u32 \dst, \ccOut, \src0, \ccIn, \src1 \dpp
.endm

.macro _v_sub_co_u32 dst:req, cc:req, src0:req, src1:req, dpp=
   v_sub_co_u32 \dst, \cc, \src0, \src1 \dpp
.endm

.macro _v_sub_u32 dst:req, src0:req, src1:req, dpp=
   v_sub_u32 \dst, \src0, \src1 \dpp
.endm

.macro _v_sub_i32 dst:req, src0:req, src1:req, dpp=
   v_sub_i32 \dst, \src0, \src1 \dpp
.endm

.macro _v_add_lshl_u32 dst:req, src0:req, src1:req, shiftCnt:req
    v_add_lshl_u32 \dst, \src0, \src1, \shiftCnt
.endm

.macro _v_lshl_add_u32 dst:req, src0:req, src1:req, shiftCnt:req
    v_lshl_add_u32 \dst, \src0, \src1, \shiftCnt
.endm

.macro _v_lshl_or_b32 dst:req, src0:req, shiftCnt:req, src1:req
    v_lshl_or_b32 \dst, \src0, \shiftCnt, \src1
.endm

.macro _v_dot2acc_f32_f16 dst, src0, src1
v_dot2c_f32_f16 \dst, \src0, \src1
.endm

.macro _v_cmpx_lt_i16 dst, src0, src1=
   v_cmpx_lt_i16 \dst, \src0, \src1 
.endm

.macro _v_cmpx_lt_i32 dst, src0, src1=
   v_cmpx_lt_i32 \dst, \src0, \src1 
.endm

.macro _v_cmpx_lt_i64 dst, src0, src1=
   v_cmpx_lt_i64 \dst, \src0, \src1 
.endm

.macro _v_cmpx_lt_u16 dst, src0, src1=
   v_cmpx_lt_u16 \dst, \src0, \src1 
.endm

.macro _v_cmpx_lt_u32 dst, src0, src1=
   v_cmpx_lt_u32 \dst, \src0, \src1 
.endm

.macro _v_cmpx_lt_u64 dst, src0, src1=
   v_cmpx_lt_u64 \dst, \src0, \src1 
.endm

.macro _v_cmpx_eq_i16 dst, src0, src1=
   v_cmpx_eq_i16 \dst, \src0, \src1 
.endm

.macro _v_cmpx_eq_i32 dst, src0, src1=
   v_cmpx_eq_i32 \dst, \src0, \src1 
.endm

.macro _v_cmpx_eq_i64 dst, src0, src1=
   v_cmpx_eq_i64 \dst, \src0, \src1 
.endm

.macro _v_cmpx_eq_u16 dst, src0, src1=
   v_cmpx_eq_u16 \dst, \src0, \src1 
.endm

.macro _v_cmpx_eq_u32 dst, src0, src1=
   v_cmpx_eq_u32 \dst, \src0, \src1 
.endm

.macro _v_cmpx_eq_u64 dst, src0, src1=
   v_cmpx_eq_u64 \dst, \src0, \src1 
.endm

.macro _v_cmpx_le_i16 dst, src0, src1=
   v_cmpx_le_i16 \dst, \src0, \src1 
.endm

.macro _v_cmpx_le_i32 dst, src0, src1=
   v_cmpx_le_i32 \dst, \src0, \src1 
.endm

.macro _v_cmpx_le_i64 dst, src0, src1=
   v_cmpx_le_i64 \dst, \src0, \src1 
.endm

.macro _v_cmpx_le_u16 dst, src0, src1=
   v_cmpx_le_u16 \dst, \src0, \src1 
.endm

.macro _v_cmpx_le_u32 dst, src0, src1=
   v_cmpx_le_u32 \dst, \src0, \src1 
.endm

.macro _v_cmpx_le_u64 dst, src0, src1=
   v_cmpx_le_u64 \dst, \src0, \src1 
.endm

.macro _v_cmpx_gt_i16 dst, src0, src1=
   v_cmpx_gt_i16 \dst, \src0, \src1 
.endm

.macro _v_cmpx_gt_i32 dst, src0, src1=
   v_cmpx_gt_i32 \dst, \src0, \src1 
.endm

.macro _v_cmpx_gt_i64 dst, src0, src1=
   v_cmpx_gt_i64 \dst, \src0, \src1 
.endm

.macro _v_cmpx_gt_u16 dst, src0, src1=
   v_cmpx_gt_u16 \dst, \src0, \src1 
.endm

.macro _v_cmpx_gt_u32 dst, src0, src1=
   v_cmpx_gt_u32 \dst, \src0, \src1 
.endm

.macro _v_cmpx_gt_u64 dst, src0, src1=
   v_cmpx_gt_u64 \dst, \src0, \src1 
.endm

.macro _v_cmpx_ne_i16 dst, src0, src1=
   v_cmpx_ne_i16 \dst, \src0, \src1 
.endm

.macro _v_cmpx_ne_i32 dst, src0, src1=
   v_cmpx_ne_i32 \dst, \src0, \src1 
.endm

.macro _v_cmpx_ne_i64 dst, src0, src1=
   v_cmpx_ne_i64 \dst, \src0, \src1 
.endm

.macro _v_cmpx_ne_u16 dst, src0, src1=
   v_cmpx_ne_u16 \dst, \src0, \src1 
.endm

.macro _v_cmpx_ne_u32 dst, src0, src1=
   v_cmpx_ne_u32 \dst, \src0, \src1 
.endm

.macro _v_cmpx_ne_u64 dst, src0, src1=
   v_cmpx_ne_u64 \dst, \src0, \src1 
.endm

.macro _v_cmpx_lg_i16 dst, src0, src1=
   v_cmpx_lg_i16 \dst, \src0, \src1 
.endm

.macro _v_cmpx_lg_i32 dst, src0, src1=
   v_cmpx_lg_i32 \dst, \src0, \src1 
.endm

.macro _v_cmpx_lg_i64 dst, src0, src1=
   v_cmpx_lg_i64 \dst, \src0, \src1 
.endm

.macro _v_cmpx_lg_u16 dst, src0, src1=
   v_cmpx_lg_u16 \dst, \src0, \src1 
.endm

.macro _v_cmpx_lg_u32 dst, src0, src1=
   v_cmpx_lg_u32 \dst, \src0, \src1 
.endm

.macro _v_cmpx_lg_u64 dst, src0, src1=
   v_cmpx_lg_u64 \dst, \src0, \src1 
.endm

.macro _v_cmpx_ge_i16 dst, src0, src1=
   v_cmpx_ge_i16 \dst, \src0, \src1 
.endm

.macro _v_cmpx_ge_i32 dst, src0, src1=
   v_cmpx_ge_i32 \dst, \src0, \src1 
.endm

.macro _v_cmpx_ge_i64 dst, src0, src1=
   v_cmpx_ge_i64 \dst, \src0, \src1 
.endm

.macro _v_cmpx_ge_u16 dst, src0, src1=
   v_cmpx_ge_u16 \dst, \src0, \src1 
.endm

.macro _v_cmpx_ge_u32 dst, src0, src1=
   v_cmpx_ge_u32 \dst, \src0, \src1 
.endm

.macro _v_cmpx_ge_u64 dst, src0, src1=
   v_cmpx_ge_u64 \dst, \src0, \src1 
.endm

.macro _v_cmpx_o_i16 dst, src0, src1=
   v_cmpx_o_i16 \dst, \src0, \src1 
.endm

.macro _v_cmpx_o_i32 dst, src0, src1=
   v_cmpx_o_i32 \dst, \src0, \src1 
.endm

.macro _v_cmpx_o_i64 dst, src0, src1=
   v_cmpx_o_i64 \dst, \src0, \src1 
.endm

.macro _v_cmpx_o_u16 dst, src0, src1=
   v_cmpx_o_u16 \dst, \src0, \src1 
.endm

.macro _v_cmpx_o_u32 dst, src0, src1=
   v_cmpx_o_u32 \dst, \src0, \src1 
.endm

.macro _v_cmpx_o_u64 dst, src0, src1=
   v_cmpx_o_u64 \dst, \src0, \src1 
.endm

.macro _v_cmpx_u_i16 dst, src0, src1=
   v_cmpx_u_i16 \dst, \src0, \src1 
.endm

.macro _v_cmpx_u_i32 dst, src0, src1=
   v_cmpx_u_i32 \dst, \src0, \src1 
.endm

.macro _v_cmpx_u_i64 dst, src0, src1=
   v_cmpx_u_i64 \dst, \src0, \src1 
.endm

.macro _v_cmpx_u_u16 dst, src0, src1=
   v_cmpx_u_u16 \dst, \src0, \src1 
.endm

.macro _v_cmpx_u_u32 dst, src0, src1=
   v_cmpx_u_u32 \dst, \src0, \src1 
.endm

.macro _v_cmpx_u_u64 dst, src0, src1=
   v_cmpx_u_u64 \dst, \src0, \src1 
.endm
.macro _v_mac_f32 c:req, a:req, b:req
    v_mac_f32 \c, \a, \b
.endmacro

/* scale global load macros */
.macro _s_load_b32 dst base offset
    s_load_dword \dst \base \offset
.endm

.macro _s_load_b64 dst base offset
    s_load_dwordx2 \dst \base \offset
.endm

.macro _s_load_b128 dst base offset
    s_load_dwordx4 \dst \base \offset
.endm

.macro _s_load_b256 dst base offset
    s_load_dwordx8 \dst \base \offset
.endm

.macro _s_load_b512 dst base offset
    s_load_dwordx16 \dst \base \offset
.endm


/* ds operation macros */
.macro _ds_load_u8 dst src offset
    ds_read_u8 \dst \src \offset
.endm

.macro _ds_load_u8_d16_hi dst src offset
    ds_read_u8_d16_hi \dst \src \offset
.endm

.macro _ds_load_u16 dst src offset
    ds_read_u16 \dst \src \offset
.endm

.macro _ds_load_u16_d16_hi dst src offset
    ds_read_u16_d16_hi \dst \src \offset
.endm

.macro _ds_load_b32 dst src offset
    ds_read_b32 \dst \src \offset
.endm

.macro _ds_load_b64 dst src offset
    ds_read_b64 \dst \src \offset
.endm

.macro _ds_load_b128 dst src offset
    ds_read_b128 \dst \src \offset
.endm

.macro _ds_store_b8 dst src offset
    ds_write_b8 \dst \src \offset
.endm

.macro _ds_store_b8_d16_hi dst src offset
    ds_write_b8_d16_hi \dst \src \offset
.endm

.macro _ds_store_b16 dst src offset
    ds_write_b16 \dst \src \offset
.endm

.macro _ds_store_b16_d16_hi dst src offset
    ds_write_b16_d16_hi \dst \src \offset
.endm

.macro _ds_store_b32 dst src offset
    ds_write_b32 \dst \src \offset
.endm

.macro _ds_store_b64 dst src offset
    ds_write_b64 \dst \src \offset
.endm

.macro _ds_store_b128 dst src offset
    ds_write_b128 \dst \src \offset
.endm

.macro _ds_load2_b32 dst src offset1 offset2
    ds_read2_b32 \dst \src \offset1 \offset2
.endm

.macro _ds_load2_b64 dst src offset1 offset2
    ds_read2_b64 \dst \src \offset1 \offset2
.endm

.macro _ds_store2_b32 dst src offset1 offset2
    ds_write2_b32 \dst \src \offset1 \offset2
.endm

.macro _ds_store2_b64 dst src offset1 offset2
    ds_write2_b64 \dst \src \offset1 \offset2
.endm


/* buffer memory operation macros */
.macro _buffer_load_b32 dst voffset base soffset offen ioffset md0 md1 md2
    buffer_load_dword \dst \voffset \base \soffset \offen \ioffset \md0 \md1 \md2
.endm

.macro _buffer_load_b64 dst voffset base soffset offen ioffset md0 md1 md2
    buffer_load_dwordx2 \dst \voffset \base \soffset \offen \ioffset \md0 \md1 \md2
.endm

.macro _buffer_load_b96 dst voffset base soffset offen ioffset md0 md1 md2
    buffer_load_dwordx3 \dst \voffset \base \soffset \offen \ioffset \md0 \md1 \md2
.endm

.macro _buffer_load_b128 dst voffset base soffset offen ioffset md0 md1 md2
    buffer_load_dwordx4 \dst \voffset \base \soffset \offen \ioffset \md0 \md1 \md2
.endm

.macro _buffer_load_d16_b16 dst voffset base soffset offen ioffset md0 md1 md2
    buffer_load_short_d16 \dst \voffset \base \soffset \offen \ioffset \md0 \md1 \md2
.endm

.macro _buffer_load_d16_hi_b16 dst voffset base soffset offen ioffset md0 md1 md2
    buffer_load_short_d16_hi \dst \voffset \base \soffset \offen \ioffset \md0 \md1 \md2
.endm

.macro _buffer_load_d16_u8 dst voffset base soffset offen ioffset md0 md1 md2
    buffer_load_ubyte_d16 \dst \voffset \base \soffset \offen \ioffset \md0 \md1 \md2
.endm

.macro _buffer_load_d16_hi_u8 dst voffset base soffset offen ioffset md0 md1 md2
    buffer_load_ubyte_d16_hi \dst \voffset \base \soffset \offen \ioffset \md0 \md1 \md2
.endm

.macro _buffer_load_u16 dst voffset base soffset offen ioffset md0 md1 md2
    buffer_load_ushort \dst \voffset \base \soffset \offen \ioffset \md0 \md1 \md2
.endm

.macro _buffer_load_b32_dtl voffset base soffset offen ioffset md0 md1 md2
    buffer_load_dword \voffset \base \soffset \offen \ioffset \md0 \md1 \md2
.endm

.macro _buffer_load_b64_dtl voffset base soffset offen ioffset md0 md1 md2
    buffer_load_dwordx2 \voffset \base \soffset \offen \ioffset \md0 \md1 \md2
.endm

.macro _buffer_load_b128_dtl voffset base soffset offen ioffset md0 md1 md2
    buffer_load_dwordx4 \voffset \base \soffset \offen \ioffset \md0 \md1 \md2
.endm

.macro _buffer_load_u16_dtl voffset base soffset offen ioffset md0 md1 md2
    buffer_load_ushort \voffset \base \soffset \offen \ioffset \md0 \md1 \md2
.endm

.macro _buffer_store_b32 src voffset base soffset offen ioffset md0 md1 md2
    buffer_store_dword \src \voffset \base \soffset \offen \ioffset \md0 \md1 \md2
.endm

.macro _buffer_store_b64 src voffset base soffset offen ioffset md0 md1 md2
    buffer_store_dwordx2 \src \voffset \base \soffset \offen \ioffset \md0 \md1 \md2
.endm

.macro _buffer_store_b96 src voffset base soffset offen ioffset md0 md1 md2
    buffer_store_dwordx3 \src \voffset \base \soffset \offen \ioffset \md0 \md1 \md2
.endm

.macro _buffer_store_b128 src voffset base soffset offen ioffset md0 md1 md2
    buffer_store_dwordx4 \src \voffset \base \soffset \offen \ioffset \md0 \md1 \md2
.endm

.macro _buffer_store_b16 src voffset base soffset offen ioffset md0 md1 md2
    buffer_store_short \src \voffset \base \soffset \offen \ioffset \md0 \md1 \md2
.endm

.macro _buffer_store_d16_hi_b16 src voffset base soffset offen ioffset md0 md1 md2
    buffer_store_short_d16_hi \src \voffset \base \soffset \offen \ioffset \md0 \md1 \md2
.endm

.macro _buffer_store_b8 src voffset base soffset offen ioffset md0 md1 md2
    buffer_store_byte \src \voffset \base \soffset \offen \ioffset \md0 \md1 \md2
.endm

.macro _buffer_store_d16_hi_b8 src voffset base soffset offen ioffset md0 md1 md2
    buffer_store_byte_d16_hi \src \voffset \base \soffset \offen \ioffset \md0 \md1 \md2
.endm

.macro _buffer_atomic_cmpswap_b32 dst voffset base soffset offen ioffset md0 md1 md2
    buffer_atomic_cmpswap \dst \voffset \base \soffset \offen \ioffset \md0 \md1 \md2
.endm

.macro _buffer_atomic_cmpswap_b64 dst voffset base soffset offen ioffset md0 md1 md2
    buffer_atomic_cmpswap_x2 \dst \voffset \base \soffset \offen \ioffset \md0 \md1 \md2
.endm


/* buffer memory operation macros */
.macro _global_load_b32 dst base src ioffset md0 md1 md2
    global_load_dword \dst \base \src \ioffset \md0 \md1 \md2
.endm

.macro _global_load_b64 dst base src ioffset md0 md1 md2
    global_load_dwordx2 \dst \base \src \ioffset \md0 \md1 \md2
.endm

.macro _global_load_b96 dst base src ioffset md0 md1 md2
    global_load_dwordx3 \dst \base \src \ioffset \md0 \md1 \md2
.endm

.macro _global_load_b128 dst base src ioffset md0 md1 md2
    global_load_dwordx4 \dst \base \src \ioffset \md0 \md1 \md2
.endm

.macro _global_load_d16_b16 dst base src ioffset md0 md1 md2
    global_load_short_d16 \dst \base \src \ioffset \md0 \md1 \md2
.endm

.macro _global_load_d16_hi_b16 dst base src ioffset md0 md1 md2
    global_load_short_d16_hi \dst \base \src \ioffset \md0 \md1 \md2
.endm

.macro _global_load_d16_u8 dst base src ioffset md0 md1 md2
    global_load_ubyte_d16 \dst \base \src \ioffset \md0 \md1 \md2
.endm

.macro _global_load_d16_hi_u8 dst base src ioffset md0 md1 md2
    global_load_ubyte_d16_hi \dst \base \src \ioffset \md0 \md1 \md2
.endm

.macro _global_load_u16 dst base src ioffset md0 md1 md2
    global_load_ushort \dst \base \src \ioffset \md0 \md1 \md2
.endm

.macro _global_store_b32 base src src2 md0 md1 md2
    global_store_dword \base \src \src2 \md0 \md1 \md2
.endm

.macro _global_store_b64 base src src2 md0 md1 md2
    global_store_dwordx2 \base \src \src2 \md0 \md1 \md2
.endm

.macro _global_store_b96 base src src2 md0 md1 md2
    global_store_dwordx3 \base \src \src2 \md0 \md1 \md2
.endm

.macro _global_store_b128 base src src2 md0 md1 md2
    global_store_dwordx4 \base \src \src2 \md0 \md1 \md2
.endm

.macro _global_store_d16_b16 base src src2 md0 md1 md2
    global_store_short \base \src \src2 \md0 \md1 \md2
.endm

.macro _global_store_d16_hi_b16 base src src2 md0 md1 md2
    global_store_short_d16_hi \base \src \src2 \md0 \md1 \md2
.endm

.macro _global_store_d16_u8 base src src2 md0 md1 md2
    global_store_ubyte_d16 \base \src \src2 \md0 \md1 \md2
.endm

.macro _global_store_d16_hi_u8 base src src2 md0 md1 md2
    global_store_ubyte_d16_hi \base \src \src2 \md0 \md1 \md2
.endm

.macro _global_store_u16 base src src2 md0 md1 md2
    global_store_ushort \base \src \src2 \md0 \md1 \md2
.endm

.macro _global_atomic_cmpswap_b32 tmp base data src ioffset md
    global_atomic_cmpswap \tmp \base \data \src \ioffset \md
.endm

.macro _global_atomic_cmpswap_b64 tmp base data src ioffset md
    global_atomic_cmpswap_x2 \tmp \base \data \src \ioffset \md
.endm


/******************************************/
/* Magic div and mod functions            */
/******************************************/
.macro V_MAGIC_DIV dstIdx:req, dividend:req, magicNumber:req, magicShift:req, magicA:req
    v_mul_hi_u32 v[\dstIdx+1], \dividend, \magicNumber
    v_mul_lo_u32 v[\dstIdx+0], \dividend, \magicA
    _v_add_u32 v[\dstIdx+0], v[\dstIdx+0], v[\dstIdx+1]
    v_lshrrev_b32 v[\dstIdx+0], \magicShift, v[\dstIdx+0]
.endm

/******************************************/
/* VGPR Assignments                       */
/******************************************/
/* ValuC range: [0-0), serializedStore enabled */
.set vgprValuC, 0
/* ValuA/B   Xn=PLR buffer idx,  In=InnerUnroll idx */
.set vgprValuA_X0_I0, 0
.set vgprValuA_X1_I0, 9
.set vgprG2LA, 24
.set vgprValuB_X0_I0, 18
.set vgprValuB_X1_I0, 19
.set vgprG2LB, 34
.set vgprLocalWriteAddrA, 20
.set vgprLocalWriteAddrB, 21
.set vgprGlobalReadOffsetA, 22
.set vgprGlobalReadOffsetB, 23
.set vgprLocalReadAddrA, 38
.set vgprLocalReadAddrB, 39
.set vgprSerial, 40
/* Num VGPR=256 */
/* Num AccVGPR=144 */

/******************************************/
/* SGPR Assignments                       */
/******************************************/
.set sgprKernArgAddress, 0 // (2)
.set sgprWorkGroup0, 2 // (1)
.set sgprWorkGroup1, 3 // (1)
.set sgprWorkGroup2, 4 // (1)
.set sgprLoopCounterL, 5 // (1)
.set sgprOrigLoopCounter, 6 // (1)
.set sgprSrdA, 8 // (4)
.set sgprSrdB, 12 // (4)
.set sgprSrdD, 16 // (4)
.set sgprSrdC, 20 // (4)
.set sgprTensor2dSizeA, 24 // (2)
.set sgprTensor2dSizeB, 26 // (2)
.set sgprAddressD, 28 // (2)
.set sgprAddressC, 30 // (2)
.set sgprAddressA, 32 // (2)
.set sgprAddressB, 34 // (2)
.set sgprAlpha, 36 // (1)
.set sgprBeta, 37 // (1)
.set sgprStridesD, 38 // (2)
.set sgprStridesC, 40 // (2)
.set sgprStridesA, 42 // (2)
.set sgprStridesB, 44 // (2)
.set sgprSizesFree, 46 // (3)
.set sgprSizesSum, 49 // (1)
.set sgprOrigStaggerUIter, 50 // (1)
.set sgprNumWorkGroups0, 51 // (1)
.set sgprNumWorkGroups1, 52 // (1)
.set sgprShadowLimitA, 0 // (2)
.set sgprShadowLimitB, 28 // (2)
.set sgprStaggerUIter, 7 // (1)
.set sgprWrapUA, 30 // (2)
.set sgprWrapUB, 32 // (2)
.set sgprGlobalReadIncsA, 34 // (1)
.set sgprGlobalReadIncsB, 35 // (1)
.set sgprScalarGlobalReadOffsetA, 56 // (8)
.set sgprScalarGlobalReadOffsetB, 64 // (3)
/* max SGPR=72 */

/* Size Assignments */
.set sgprSizeI, sgprSizesFree+0
.set sgprSizeJ, sgprSizesFree+1
.set sgprSizeK, sgprSizesFree+2
.set sgprSizeL, sgprSizesSum+0

/* Stride Assignments */
.set constStrideD0I, 1
.set sgprStrideD1J, sgprStridesD+0
.set sgprStrideDK, sgprStridesD+1
.set constStrideC0I, 1
.set sgprStrideC1J, sgprStridesC+0
.set sgprStrideCK, sgprStridesC+1
.set constStrideA0I, 1
.set sgprStrideAL, sgprStridesA+0
.set sgprStrideAK, sgprStridesA+1
.set constStrideB1J, 1
.set sgprStrideBL, sgprStridesB+0
.set sgprStrideBK, sgprStridesB+1

.set MT0, 288
.set MT1, 128
.set DepthU, 8
.set GSU, 1
.set BpeA, 4
.set BpeALog2, 2
.set BpeB, 4
.set BpeBLog2, 2
/* Number of elements to shift-left SRD */
.set SrdShiftLeftA, 1
.set SrdShiftLeftB, 1
/* 2GB limit - set offsets to -1 to exceed this and clamp */
.set BufferLimitA, 0xffffffff
.set BufferLimitB, 0xffffffff
.set BufferOOB, 0xfffff000

/******************************************/
/* Bits 127:96 of SRD.                    */
/* hex: 0x00020000                        */
/* dst_sel_x (3b): 0                      */
/* dst_sel_y (3b): 0                      */
/* dst_sel_z (3b): 0                      */
/* dst_sel_w (3b): 0                      */
/* num_format (3b): 0                     */
/* data_format (4b): 4                    */
/* user_vm_enable (1b): 0                 */
/* user_vm_mode (1b): 0                   */
/* index_stride (2b): 0                   */
/* add_tid_enable (1b): 0                 */
/* _unusedA (3b): 0                       */
/* nv (1b): 0                             */
/* _unusedB (2b): 0                       */
/* type (2b): 0                           */
/******************************************/
.set Srd127_96, 0x00020000

/* Global Offset A */
.macro GLOBAL_OFFSET_A vgprAddr:req vgprOffset0I:req vgprOffsetL:req vgprTmp:req
v_mul_lo_u32 v[\vgprTmp+0], s[sgprStrideAL], v[\vgprOffsetL] // mul d1 lower
_v_add_co_u32 v[\vgprAddr+0], vcc, v[\vgprOffset0I], v[\vgprTmp+0] // accumulate K lower
_v_add_u32 v[\vgprAddr+0], 0x1, v[\vgprAddr+0]     // add prepad for pointer shift
v_lshlrev_b32 v[\vgprAddr+0], 0x2, v[\vgprAddr+0]  // offset *= bytes/element
.endm

/* Global Offset B */
.macro GLOBAL_OFFSET_B vgprAddr:req vgprOffset1J:req vgprOffsetL:req vgprTmp:req
v_mul_lo_u32 v[\vgprTmp+0], s[sgprStrideBL], v[\vgprOffsetL] // mul d1 lower
_v_add_co_u32 v[\vgprAddr+0], vcc, v[\vgprOffset1J], v[\vgprTmp+0] // accumulate K lower
_v_add_u32 v[\vgprAddr+0], 0x1, v[\vgprAddr+0]     // add prepad for pointer shift
v_lshlrev_b32 v[\vgprAddr+0], 0x2, v[\vgprAddr+0]  // offset *= bytes/element
.endm

/******************************************/
/* Dynamic Scalar Divide: vQuotient=vDividend/vDivisor; vRemainder=vDividend%vDivisor; */
/******************************************/
.macro DYNAMIC_VECTOR_DIVIDE vQuotient vRemainder vDividend vDivisor vTmp0 vTmp1 sTmp
v_cvt_f32_u32 v[\vQuotient], v[\vDivisor]          // 
v_rcp_f32 v[\vQuotient], v[\vQuotient]             // 
v_mul_f32 v[\vQuotient], 0x4f800000, v[\vQuotient] // 
v_cvt_u32_f32 v[\vQuotient], v[\vQuotient]         // 
v_mul_lo_u32 v[\vRemainder], v[\vDivisor], v[\vQuotient] // 
v_mul_hi_u32 v[\vTmp0], v[\vDivisor], v[\vQuotient] // 
_v_sub_co_u32 v[\vTmp1], vcc, 0x0, v[\vRemainder]  // 
v_cmp_ne_i32 s[\sTmp:\sTmp+1], 0x0, v[\vTmp0]      // 
v_cndmask_b32 v[\vRemainder], v[\vTmp1], v[\vRemainder], s[\sTmp:\sTmp+1] // 
v_mul_hi_u32 v[\vRemainder], v[\vRemainder], v[\vQuotient] // 
_v_sub_co_u32 v[\vTmp0], vcc, v[\vQuotient], v[\vRemainder] // 
_v_add_co_u32 v[\vQuotient], vcc, v[\vQuotient], v[\vRemainder] // 
v_cndmask_b32 v[\vQuotient], v[\vQuotient], v[\vTmp0], s[\sTmp:\sTmp+1] // 
v_mul_hi_u32 v[\vQuotient], v[\vQuotient], v[\vDividend] // 
v_mul_lo_u32 v[\vRemainder], v[\vQuotient], v[\vDivisor] // 
_v_sub_co_u32 v[\vTmp0], vcc, v[\vDividend], v[\vRemainder] // 
v_cmp_ge_u32 s[\sTmp:\sTmp+1], v[\vDividend], v[\vRemainder] // 
_v_add_co_u32 v[\vRemainder], vcc, 0x1, v[\vQuotient] // 
_v_add_co_u32 v[\vTmp1], vcc, -1, v[\vQuotient]    // 
v_cmp_le_u32 vcc, v[\vDivisor], v[\vTmp0]          // 
s_and_b64 vcc, s[\sTmp:\sTmp+1], vcc               // 
v_cndmask_b32 v[\vQuotient], v[\vQuotient], v[\vRemainder], vcc // 
v_cndmask_b32 v[\vQuotient], v[\vTmp1], v[\vQuotient], s[\sTmp:\sTmp+1] // 
v_cmp_ne_i32 vcc, 0x0, v[\vDivisor]                // 
v_cndmask_b32 v[\vQuotient], -1, v[\vQuotient], vcc // final result
v_mul_lo_u32 v[\vRemainder], v[\vQuotient], v[\vDivisor] // 
_v_sub_co_u32 v[\vRemainder], vcc, v[\vDividend], v[\vRemainder] // final result
.endm


	;; [unrolled: 1-line block ×3, first 2 shown]
/******************************************/
/* Allocate Resources                     */
/******************************************/

Cijk_Ailk_Bjlk_SB_MT288x128x8_MI32x32x2x1_SE_1LDSB0_APM1_AF0EM1_AF1EM1_AMAS0_ASE_ASAE01_ASCE01_ASEM1_BL1_DTLA0_DTLB0_DVO0_EPS1_FL0_GLVWA1_GLVWB1_GRVW1_GSU1_GSUASB_ISA908_IU1_K1_KLA_LBSPPA0_LBSPPB0_LPA0_LPB0_LDL1_LRVW1_LDW0_MAC_MDA2_MMFGLC_NTC0_NTD0_NEPBS0_NLCA9_NLCB2_ONLL1_OPLV0_PK0_PAP0_PGR1_PLR1_SIA3_SS0_SU32_SUM0_SUS256_SPO0_SRVW0_SSO0_SVW4_SNLL0_TT9_32_TLDS0_UMLDSA0_UMLDSB0_USFGROn1_VAW1_VSn1_VW1_VWB1_WSGRA1_WSGRB1_WG32_8_1_WGM1_preloaded: // Kernel start when preloading

/* Load Kernel Args */
_s_load_b512 s[24:39], s[sgprKernArgAddress:sgprKernArgAddress+1], 0x0 // 
_s_load_b256 s[40:47], s[sgprKernArgAddress:sgprKernArgAddress+1], 0x40 // 
_s_load_b128 s[48:51], s[sgprKernArgAddress:sgprKernArgAddress+1], 0x60 // 
_s_load_b32 s52, s[sgprKernArgAddress:sgprKernArgAddress+1], 0x70 // 
s_mov_b32 m0, 0x7400                               // LDS clamp at 29696 bytes
v_mov_b32 v[vgprSerial], v0                        // thread serial id

/******************************************/
/* Local Read Addresses                   */
/******************************************/


/* local read addresses: tile assignments a/b */

/*lr0I*/
v_and_b32 v1, 63, v[vgprSerial]                    // 0. thread id in wave: wtid = tid % wavelength(64)
v_and_b32 v0, 31, v1                               // 1. N offset: nIdx = wtid % MI_N(32)
                                                   // 1. N offset: nOffset = nIdx * nStride(1) (multiplier is 1, do nothing)
                                                   // 2. block offset: bnIdx = bnIdx % num1DBlocks(1) is 0. do nothing
                                                   // 4. apply VectorWidth: bnOffset = bnOffset * vw(1) (multiplier is 1, do nothing)
v_lshrrev_b32 v1, 5, v1                            // 5. K offset: kIdx = wtid / (MIN(32) * MIBB(1))
s_mov_b32 s7, 0x120                                // 5. K offset: lrKOffset = kIdx * mStride(288)
v_mul_lo_u32 v1, s7, v1                            // 5. K offset: lrKOffset = kIdx * mStride(288)
_v_add_u32 v0, v1, v0                              // 6. offset in wave: lrOffset = bnOffset + lrKOffset
/*lr1J*/
v_and_b32 v2, 63, v[vgprSerial]                    // 0. thread id in wave: wtid = tid % wavelength(64)
v_and_b32 v1, 31, v2                               // 1. N offset: nIdx = wtid % MI_N(32)
                                                   // 1. N offset: nOffset = nIdx * nStride(1) (multiplier is 1, do nothing)
                                                   // 2. block offset: bnIdx = bnIdx % num1DBlocks(1) is 0. do nothing
                                                   // 4. apply VectorWidth: bnOffset = bnOffset * vw(1) (multiplier is 1, do nothing)
v_lshrrev_b32 v2, 5, v2                            // 5. K offset: kIdx = wtid / (MIN(32) * MIBB(1))
v_lshlrev_b32 v2, 0x7, v2                          // 5. K offset: lrKOffset = kIdx * mStride(128)
_v_add_u32 v1, v2, v1                              // 6. offset in wave: lrOffset = bnOffset + lrKOffset
v_lshrrev_b32 v3, 6, v[vgprSerial]                 // 7. wave offset in N dimen: wtid = tid / dividedForWaveId(64)
v_and_b32 v2, 3, v3                                // 7. wave offset in M dimen: wtid0 = wtid / num1DWaves(4)
v_lshlrev_b32 v2, 0x5, v2                          // 7. wave offset in M dimen: wOffset = wtid0 * W0Stride(32)
_v_add_u32 v1, v2, v1                              // 8. final local read offset: flrOffset = lrOffset + WOffset


/* local read addresses: final offsets a */

v_lshlrev_b32 v[vgprLocalReadAddrA], 0x2, v0       // Final Offset: offset = (lro0)*bpe


/* local read addresses: final offsets b */

v_lshlrev_b32 v[vgprLocalReadAddrB], 0x2, v1       // Final Offset: offset = (lro1)*bpe


/* local read addresses: declare addresses a */

/* N/A */


/* local read addresses: declare addresses b */

_v_add_co_u32 v[vgprLocalReadAddrB+0], vcc, 0x2400, v[vgprLocalReadAddrB+0] //  += LdsOffsetB (lower)


/* global read addresses: tile offset assignment a */

/* LVCA = 32 */
/* v0 = (local)groA-tile = serial%LVCA (note (wgA*MTA) will be added to SRD) */
/* v1 = groA-unroll = serial/LVCA */
v_and_b32 v2, 63, v[vgprSerial]                    // v2 = v[vgprSerial] % 64
v_lshrrev_b32 v1, 5, v2                            // v1 = v2 / 32
v_and_b32 v0, 31, v2                               // v0 = v2 % 32
v_readfirstlane_b32 s54, v[vgprSerial]             // WaveIdxWavefrontWidth
s_lshr_b32 s54, s54, 0x6                           // WaveId
s_mul_i32 s54, s54, 2                              // Global Read Wave: each wave loads continuous lsp(2)*nrp(1) columns
_v_add_u32 v1, s54, v1                             // Global Read Wave: add back to column index
/* gro-tile *= glvw */
                                                   // v0 = v0 * 1 (multiplier is 1, do nothing)


/* global read addresses: tile offset assignment b */

/* LVCB = 64 */
/* v2 = (local)groB-tile = serial%LVCB (note (wgB*MTB) will be added to SRD) */
/* v3 = groB-unroll = serial/LVCB */
v_and_b32 v4, 63, v[vgprSerial]                    // v4 = v[vgprSerial] % 64
v_lshrrev_b32 v3, 6, v4                            // v3 = v4 / 64
v_and_b32 v2, 63, v4                               // v2 = v4 % 64
v_readfirstlane_b32 s54, v[vgprSerial]             // WaveIdxWavefrontWidth
s_lshr_b32 s54, s54, 0x6                           // WaveId
s_mul_i32 s54, s54, 2                              // Global Read Wave: each wave loads continuous lsp(1)*nrp(2) columns
_v_add_u32 v3, s54, v3                             // Global Read Wave: add back to column index
/* gro-tile *= glvw */
                                                   // v2 = v2 * 1 (multiplier is 1, do nothing)


/******************************************/
/* Local Write Addresses                  */
/******************************************/

/* lwaTileAssignmentA = v0 */

/* lwaTileAssignmentB = v2 */

/* lwaUnrollAssignmentA = v1 */

/* lwaUnrollAssignmentB = v3 */


/* local write addresses: first offset a */

v_mul_u32_u24 v[vgprLocalWriteAddrA], 0x120, v1    // lwAL**(MTA + PAD)
_v_add_lshl_u32 v[vgprLocalWriteAddrA], v0, v[vgprLocalWriteAddrA], 0x2 // lwFOA = (lwAA + lwAL*(MT0I+PAD))*bpe


/* local write addresses: first offset b */

v_mul_u32_u24 v[vgprLocalWriteAddrB], 0x80, v3     // lwBL**(MTB + PAD)
_v_add_lshl_u32 v[vgprLocalWriteAddrB], v2, v[vgprLocalWriteAddrB], 0x2 // lwFOB = (lwBB + lwBL*(MT1J+PAD))*bpe
_v_add_co_u32 v[vgprLocalWriteAddrB], vcc, 0x2400, v[vgprLocalWriteAddrB] // lwFOB = lwB1J + lwBL*MT1J + LDS_OFFSET_B=2304*4


	;; [unrolled: 1-line block ×7, first 2 shown]
s_waitcnt lgkmcnt(0)                               // wait for 116 bytes of kern args
s_mov_b64 s[sgprSrdC+0:sgprSrdC+0+1], s[sgprAddressC+0:sgprAddressC+0+1] // copy addressC
s_mov_b64 s[sgprSrdD+0:sgprSrdD+0+1], s[sgprAddressD+0:sgprAddressD+0+1] // copy addressD
s_sub_u32 s[sgprSrdA+0], s[sgprAddressA+0], 4      // pre-pad to make room for possible pointer shift
s_subb_u32 s[sgprSrdA+1], s[sgprAddressA+1], 0     // pre-pad to make room for possible pointer shift
s_sub_u32 s[sgprSrdB+0], s[sgprAddressB+0], 4      // pre-pad to make room for possible pointer shift
s_subb_u32 s[sgprSrdB+1], s[sgprAddressB+1], 0     // pre-pad to make room for possible pointer shift

.set AddressD, UNDEF
.set AddressC, UNDEF
.set AddressA, UNDEF
.set AddressB, UNDEF

/* Short circuit condition if Alpha == 0, then sumDims=0 */
v_cmp_eq_f32 vcc, s[sgprAlpha], 0.0                // Alpha == 0.0f ?
s_cbranch_vccz label_AlphaNonZero                  // branch if alpha != 0
s_mov_b32 s[sgprSizesSum+0], 0x0                   // Set summation dim=0 if Alpha == 0
label_AlphaNonZero:



/******************************************/
/* Begin setupNewTile, isPap=False           */
/******************************************/


/* global read addresses: work-group */

/* graWorkGroup mapping */


/* global read addresses: unroll assignment a */

/* v1 */


/* global read addresses: unroll assignment b */

/* v3 */


/* global read addresses: other free assignments */

/* s[sgprWorkGroup2] */


/* global read addresses: tile offsets a */


	;; [unrolled: 1-line block ×3, first 2 shown]
/* global read addresses: tile offsets b */


	;; [unrolled: 1-line block ×3, first 2 shown]
/* global read addresses: unroll offsets a */



/* global read addresses: unroll offsets b */


	;; [unrolled: 1-line block ×3, first 2 shown]
/* global read addresses: final offsets a */

GLOBAL_OFFSET_A vgprGlobalReadOffsetA+0,  0,  1, 4 // gROA_0_0_0_0
s_mul_i32 s[sgprScalarGlobalReadOffsetA+0], s[sgprStrideAL], 0 // compute offset diff (scaled unrollDim)
s_add_u32 s[sgprScalarGlobalReadOffsetA+0], s[sgprScalarGlobalReadOffsetA+0], 32 // compute offset diff (tileDim)
s_lshl_b32 s[sgprScalarGlobalReadOffsetA+0], s[sgprScalarGlobalReadOffsetA+0], 0x2 // scalar offset *= bytes/element
s_mul_i32 s[sgprScalarGlobalReadOffsetA+1], s[sgprStrideAL], 0 // compute offset diff (scaled unrollDim)
s_add_u32 s[sgprScalarGlobalReadOffsetA+1], s[sgprScalarGlobalReadOffsetA+1], 64 // compute offset diff (tileDim)
s_lshl_b32 s[sgprScalarGlobalReadOffsetA+1], s[sgprScalarGlobalReadOffsetA+1], 0x2 // scalar offset *= bytes/element
	;; [unrolled: 3-line block ×8, first 2 shown]


/* global read addresses: final offsets b */

GLOBAL_OFFSET_B vgprGlobalReadOffsetB+0,  2,  3, 4 // gROB_0_0_0_0
s_mul_i32 s[sgprScalarGlobalReadOffsetB+0], s[sgprStrideBL], 0 // compute offset diff (scaled unrollDim)
s_add_u32 s[sgprScalarGlobalReadOffsetB+0], s[sgprScalarGlobalReadOffsetB+0], 64 // compute offset diff (tileDim)
s_lshl_b32 s[sgprScalarGlobalReadOffsetB+0], s[sgprScalarGlobalReadOffsetB+0], 0x2 // scalar offset *= bytes/element
s_mul_i32 s[sgprScalarGlobalReadOffsetB+1], s[sgprStrideBL], 1 // compute offset diff (scaled unrollDim)
s_lshl_b32 s[sgprScalarGlobalReadOffsetB+1], s[sgprScalarGlobalReadOffsetB+1], 0x2 // scalar offset *= bytes/element
s_mul_i32 s[sgprScalarGlobalReadOffsetB+2], s[sgprStrideBL], 1 // compute offset diff (scaled unrollDim)
s_add_u32 s[sgprScalarGlobalReadOffsetB+2], s[sgprScalarGlobalReadOffsetB+2], 64 // compute offset diff (tileDim)
s_lshl_b32 s[sgprScalarGlobalReadOffsetB+2], s[sgprScalarGlobalReadOffsetB+2], 0x2 // scalar offset *= bytes/element


/* global read addresses: addresses a */

/* max read offset = size[n] * stride[n-1] */
s_mul_hi_u32 s71, s[sgprWorkGroup0], 288           // WorkGroup[01] * MT
s_mul_i32 s70, s[sgprWorkGroup0], 288              // WorkGroup[01] * MT
s_sub_u32 s[sgprShadowLimitA+0], s[sgprTensor2dSizeA], s70 // sub tileStart
s_subb_u32 s[sgprShadowLimitA+1], s[sgprTensor2dSizeA+1], s71 // sub tileStart
s_lshl_b64 s[sgprShadowLimitA:sgprShadowLimitA+1], s[sgprShadowLimitA:sgprShadowLimitA+1], 0x2 // Set limit to use bytes
s_add_u32 s[sgprShadowLimitA+0], s[sgprShadowLimitA+0], 4 // extend limit for pre-pad
s_addc_u32 s[sgprShadowLimitA+1], s[sgprShadowLimitA+1], 0 // extend limit for pre-pad
s_cmp_eq_u32 s[sgprShadowLimitA+1], 0              // are we within 2^32?
s_cselect_b32 s[sgprSrdA+2], s[sgprShadowLimitA+0], BufferLimitA // Move shadow to real if we are within 2^32
s_mul_hi_u32 s69, s[sgprStrideAK], s[sgprWorkGroup2] // Stride*WG
s_mul_i32 s68, s[sgprStrideAK], s[sgprWorkGroup2]  // Stride*WG
s_add_u32 s70, s70, s68                            // accum wg term to tilestart
s_addc_u32 s71, s71, s69                           // accum wg term to tilestart
s_lshl_b64 s[70:71], s[70:71], 0x2                 // tileStart *= BPE
s_add_u32 s[sgprSrdA+0], s[sgprSrdA+0], s70        // SRD base = Address+ tileStart0
s_addc_u32 s[sgprSrdA+1], s[sgprSrdA+1], s71       // SRD base = Address+ tileStart1
s_mov_b32 s[sgprSrdA+3], Srd127_96                 // Set bits 127_96 in SRD


/* global read addresses: addresses b */

/* max read offset = size[n] * stride[n-1] */
s_mul_hi_u32 s71, s[sgprWorkGroup1], 128           // WorkGroup[01] * MT
s_mul_i32 s70, s[sgprWorkGroup1], 128              // WorkGroup[01] * MT
s_sub_u32 s[sgprShadowLimitB+0], s[sgprTensor2dSizeB], s70 // sub tileStart
s_subb_u32 s[sgprShadowLimitB+1], s[sgprTensor2dSizeB+1], s71 // sub tileStart
s_lshl_b64 s[sgprShadowLimitB:sgprShadowLimitB+1], s[sgprShadowLimitB:sgprShadowLimitB+1], 0x2 // Set limit to use bytes
s_add_u32 s[sgprShadowLimitB+0], s[sgprShadowLimitB+0], 4 // extend limit for pre-pad
s_addc_u32 s[sgprShadowLimitB+1], s[sgprShadowLimitB+1], 0 // extend limit for pre-pad
s_cmp_eq_u32 s[sgprShadowLimitB+1], 0              // are we within 2^32?
s_cselect_b32 s[sgprSrdB+2], s[sgprShadowLimitB+0], BufferLimitB // Move shadow to real if we are within 2^32
s_mul_hi_u32 s69, s[sgprStrideBK], s[sgprWorkGroup2] // Stride*WG
s_mul_i32 s68, s[sgprStrideBK], s[sgprWorkGroup2]  // Stride*WG
s_add_u32 s70, s70, s68                            // accum wg term to tilestart
s_addc_u32 s71, s71, s69                           // accum wg term to tilestart
s_lshl_b64 s[70:71], s[70:71], 0x2                 // tileStart *= BPE
s_add_u32 s[sgprSrdB+0], s[sgprSrdB+0], s70        // SRD base = Address+ tileStart0
s_addc_u32 s[sgprSrdB+1], s[sgprSrdB+1], s71       // SRD base = Address+ tileStart1
s_mov_b32 s[sgprSrdB+3], Srd127_96                 // Set bits 127_96 in SRD


/* global read addresses: increments a */

s_mul_i32 s[sgprGlobalReadIncsA+0], DepthU*BpeA, s[sgprStrideAL] // incrA unrollIdx)


/* global read addresses: increments b */

s_mul_i32 s[sgprGlobalReadIncsB+0], DepthU*BpeB, s[sgprStrideBL] // incrB unrollIdx)

/* declare loop num iterations */


s_add_i32 s[sgprLoopCounterL], 7, s[sgprSizesSum+0] // round up SizeSum / DepthU
s_lshr_b32 s[sgprLoopCounterL], s[sgprLoopCounterL], 3 // s[sgprLoopCounterL] = s[sgprLoopCounterL] / 8
s_mov_b32 s[sgprOrigLoopCounter], s[sgprLoopCounterL] // copy loop counter

s_and_b32 s[sgprStaggerUIter], s[sgprOrigStaggerUIter], s[sgprWorkGroup0] // Compute actual stagger start for this tile
s_lshl_b32 s[sgprStaggerUIter], s[sgprStaggerUIter], 3 // shift by StaggerUStride


/* SRDs += (StaggerUIter) * GlobalReadIncsA+0 */
s_mul_hi_u32 s69, s[sgprStaggerUIter], s[sgprGlobalReadIncsA+0] //  stagger byte offset
s_mul_i32 s68, s[sgprStaggerUIter], s[sgprGlobalReadIncsA+0] //  stagger byte offset
s_mul_hi_u32 s[sgprWrapUA+1], s[sgprLoopCounterL], s[sgprGlobalReadIncsA+0] // Number of bytes accessed by the unroll loop
s_mul_i32 s[sgprWrapUA+0], s[sgprLoopCounterL], s[sgprGlobalReadIncsA+0] // Number of bytes accessed by the unroll loop
s_sub_u32 s[sgprWrapUA+0], s[sgprGlobalReadIncsA+0], s[sgprWrapUA+0] // remove one iteration
s_subb_u32 s[sgprWrapUA+1], 0, s[sgprWrapUA+1]     // remove one iteration
s_add_u32 s[sgprSrdA+0], s[sgprSrdA+0], s68        // gra SRD += inc(lower)
s_addc_u32  s[sgprSrdA+1], s[sgprSrdA+1], s69      // gra SRD += inc(upper)
s_sub_u32 s[sgprShadowLimitA+0], s[sgprShadowLimitA+0], s68 // limit -= inc)
s_subb_u32 s[sgprShadowLimitA+1], s[sgprShadowLimitA+1], s69 // limit -= inc)
s_cmp_eq_u32 s[sgprShadowLimitA+1], 0              // are we within 2^32?
s_cselect_b32 s[sgprSrdA+2], s[sgprShadowLimitA+0], BufferLimitA // Move shadow to real if we are within 2^32


/* SRDs += (StaggerUIter) * GlobalReadIncsB+0 */
s_mul_hi_u32 s69, s[sgprStaggerUIter], s[sgprGlobalReadIncsB+0] //  stagger byte offset
s_mul_i32 s68, s[sgprStaggerUIter], s[sgprGlobalReadIncsB+0] //  stagger byte offset
s_mul_hi_u32 s[sgprWrapUB+1], s[sgprLoopCounterL], s[sgprGlobalReadIncsB+0] // Number of bytes accessed by the unroll loop
s_mul_i32 s[sgprWrapUB+0], s[sgprLoopCounterL], s[sgprGlobalReadIncsB+0] // Number of bytes accessed by the unroll loop
s_sub_u32 s[sgprWrapUB+0], s[sgprGlobalReadIncsB+0], s[sgprWrapUB+0] // remove one iteration
s_subb_u32 s[sgprWrapUB+1], 0, s[sgprWrapUB+1]     // remove one iteration
s_add_u32 s[sgprSrdB+0], s[sgprSrdB+0], s68        // gra SRD += inc(lower)
s_addc_u32  s[sgprSrdB+1], s[sgprSrdB+1], s69      // gra SRD += inc(upper)
s_sub_u32 s[sgprShadowLimitB+0], s[sgprShadowLimitB+0], s68 // limit -= inc)
s_subb_u32 s[sgprShadowLimitB+1], s[sgprShadowLimitB+1], s69 // limit -= inc)
s_cmp_eq_u32 s[sgprShadowLimitB+1], 0              // are we within 2^32?
s_cselect_b32 s[sgprSrdB+2], s[sgprShadowLimitB+0], BufferLimitB // Move shadow to real if we are within 2^32
s_add_u32 s[sgprStaggerUIter], s[sgprStaggerUIter], 2 // Subtract (PGR-1); StaggerUIter now contains target iteration to wrap

/* local read addresses: init pointers a */


/* localReadInitPointers */

/* local read addresses: init pointers b */


/* localReadInitPointers */


/* prefetch: global -> local */

s_cmp_eq_u32 s[sgprLoopCounterL], 0                // at last iteration?
s_cbranch_scc1 ShadowInitStart_10                  // skip to ShadowInitStart iter b/c numIter==0


_buffer_load_b32 v[vgprG2LA+0], v[vgprGlobalReadOffsetA+0], s[sgprSrdA:sgprSrdA+3], 0, offen offset:0 // G -> Reg 0_0_0_0
_buffer_load_b32 v[vgprG2LA+1], v[vgprGlobalReadOffsetA+0], s[sgprSrdA:sgprSrdA+3], s[sgprScalarGlobalReadOffsetA+0], offen offset:0 // G -> Reg 1_0_0_0
_buffer_load_b32 v[vgprG2LA+2], v[vgprGlobalReadOffsetA+0], s[sgprSrdA:sgprSrdA+3], s[sgprScalarGlobalReadOffsetA+1], offen offset:0 // G -> Reg 2_0_0_0
_buffer_load_b32 v[vgprG2LA+3], v[vgprGlobalReadOffsetA+0], s[sgprSrdA:sgprSrdA+3], s[sgprScalarGlobalReadOffsetA+2], offen offset:0 // G -> Reg 3_0_0_0
_buffer_load_b32 v[vgprG2LA+4], v[vgprGlobalReadOffsetA+0], s[sgprSrdA:sgprSrdA+3], s[sgprScalarGlobalReadOffsetA+3], offen offset:0 // G -> Reg 4_0_0_0
_buffer_load_b32 v[vgprG2LA+5], v[vgprGlobalReadOffsetA+0], s[sgprSrdA:sgprSrdA+3], s[sgprScalarGlobalReadOffsetA+4], offen offset:0 // G -> Reg 5_0_0_0
_buffer_load_b32 v[vgprG2LA+6], v[vgprGlobalReadOffsetA+0], s[sgprSrdA:sgprSrdA+3], s[sgprScalarGlobalReadOffsetA+5], offen offset:0 // G -> Reg 6_0_0_0
_buffer_load_b32 v[vgprG2LA+7], v[vgprGlobalReadOffsetA+0], s[sgprSrdA:sgprSrdA+3], s[sgprScalarGlobalReadOffsetA+6], offen offset:0 // G -> Reg 7_0_0_0
_buffer_load_b32 v[vgprG2LA+8], v[vgprGlobalReadOffsetA+0], s[sgprSrdA:sgprSrdA+3], s[sgprScalarGlobalReadOffsetA+7], offen offset:0 // G -> Reg 8_0_0_0


_buffer_load_b32 v[vgprG2LB+0], v[vgprGlobalReadOffsetB+0], s[sgprSrdB:sgprSrdB+3], 0, offen offset:0 // G -> Reg 0_0_0_0
_buffer_load_b32 v[vgprG2LB+1], v[vgprGlobalReadOffsetB+0], s[sgprSrdB:sgprSrdB+3], s[sgprScalarGlobalReadOffsetB+0], offen offset:0 // G -> Reg 1_0_0_0
_buffer_load_b32 v[vgprG2LB+2], v[vgprGlobalReadOffsetB+0], s[sgprSrdB:sgprSrdB+3], s[sgprScalarGlobalReadOffsetB+1], offen offset:0 // G -> Reg 0_0_1_0
_buffer_load_b32 v[vgprG2LB+3], v[vgprGlobalReadOffsetB+0], s[sgprSrdB:sgprSrdB+3], s[sgprScalarGlobalReadOffsetB+2], offen offset:0 // G -> Reg 1_0_1_0


/* global read inc A loopL */
s_add_u32 s70, s[sgprLoopCounterL], 1              // remove pf(1)
s_cmp_eq_u32 s[sgprStaggerUIter], s70              // Is this wrapIter? (pf)
s_cselect_b32 s68, s[sgprWrapUA+0], s[sgprGlobalReadIncsA+0] // incLower <- ?
s_cselect_b32 s69, s[sgprWrapUA+1], 0              // incUpper <- ?
s_add_u32 s[sgprSrdA+0], s[sgprSrdA+0], s68        // gra SRD += inc(lower)
s_addc_u32  s[sgprSrdA+1], s[sgprSrdA+1], s69      // gra SRD += inc(upper)
s_sub_u32 s[sgprShadowLimitA+0], s[sgprShadowLimitA+0], s68 // limit -= inc)
s_subb_u32 s[sgprShadowLimitA+1], s[sgprShadowLimitA+1], s69 // limit -= inc)
s_cmp_eq_u32 s[sgprShadowLimitA+1], 0              // are we within 2^32?
s_cselect_b32 s[sgprSrdA+2], s[sgprShadowLimitA+0], BufferLimitA // Move shadow to real if we are within 2^32

/* global read inc B loopL */
s_add_u32 s70, s[sgprLoopCounterL], 1              // remove pf(1)
s_cmp_eq_u32 s[sgprStaggerUIter], s70              // Is this wrapIter? (pf)
s_cselect_b32 s68, s[sgprWrapUB+0], s[sgprGlobalReadIncsB+0] // incLower <- ?
s_cselect_b32 s69, s[sgprWrapUB+1], 0              // incUpper <- ?
s_add_u32 s[sgprSrdB+0], s[sgprSrdB+0], s68        // gra SRD += inc(lower)
s_addc_u32  s[sgprSrdB+1], s[sgprSrdB+1], s69      // gra SRD += inc(upper)
s_sub_u32 s[sgprShadowLimitB+0], s[sgprShadowLimitB+0], s68 // limit -= inc)
s_subb_u32 s[sgprShadowLimitB+1], s[sgprShadowLimitB+1], s69 // limit -= inc)
s_cmp_eq_u32 s[sgprShadowLimitB+1], 0              // are we within 2^32?
s_cselect_b32 s[sgprSrdB+2], s[sgprShadowLimitB+0], BufferLimitB // Move shadow to real if we are within 2^32


/******************************************/
/* End setupNewTile, isPap=False             */
/******************************************/

ShadowInitStart_10: // 

s_mov_b32 s[sgprSrdD+2], BufferOOB                 // 
s_mov_b32 s[sgprSrdD+3], Srd127_96                 // Set bits 127_96 in post-loop SRD

s_mov_b32 s[sgprSrdC+2], BufferOOB                 // 
s_mov_b32 s[sgprSrdC+3], Srd127_96                 // Set bits 127_96 in post-loop SRD


s_mul_i32 s70, MT1, s[sgprWorkGroup1]              // <- wg1*MT1
s_mul_hi_u32 s69, s70, s[sgprStrideC1J]            // CScale s70 by Stride
s_mul_i32 s68, s70, s[sgprStrideC1J]               // CScale s70 by Stride
s_lshl_b64 s[68:69], s[68:69], 2                   // scale by bpe
s_add_u32 s[sgprSrdC+0], s[sgprSrdC+0], s68        // add lo to SRD
s_addc_u32 s[sgprSrdC+1], s[sgprSrdC+1], s69       // add hi to SRD
s_mul_hi_u32 s69, s70, s[sgprStrideD1J]            // Scale s70 by Stride
s_mul_i32 s68, s70, s[sgprStrideD1J]               // Scale s70 by Stride
s_lshl_b64 s[68:69], s[68:69], 2                   // scale by bpe
s_add_u32 s[sgprSrdD+0], s[sgprSrdD+0], s68        // add lo to SRD
s_addc_u32 s[sgprSrdD+1], s[sgprSrdD+1], s69       // add hi to SRD

s_mul_hi_u32 s69, s[sgprWorkGroup2], s[sgprStrideCK] // CScale s[sgprWorkGroup2] by Stride
s_mul_i32 s68, s[sgprWorkGroup2], s[sgprStrideCK]  // CScale s[sgprWorkGroup2] by Stride
s_lshl_b64 s[68:69], s[68:69], 2                   // scale by bpe
s_add_u32 s[sgprSrdC+0], s[sgprSrdC+0], s68        // add lo to SRD
s_addc_u32 s[sgprSrdC+1], s[sgprSrdC+1], s69       // add hi to SRD
s_mul_hi_u32 s69, s[sgprWorkGroup2], s[sgprStrideDK] // Scale s[sgprWorkGroup2] by Stride
s_mul_i32 s68, s[sgprWorkGroup2], s[sgprStrideDK]  // Scale s[sgprWorkGroup2] by Stride
s_lshl_b64 s[68:69], s[68:69], 2                   // scale by bpe
s_add_u32 s[sgprSrdD+0], s[sgprSrdD+0], s68        // add lo to SRD
s_addc_u32 s[sgprSrdD+1], s[sgprSrdD+1], s69       // add hi to SRD


	;; [unrolled: 1-line block ×3, first 2 shown]
/* initC: remove C-tile 0-0 from pool */

/* initC: remove AB-tile 0-20 from pool */
v_accvgpr_write acc0, 0x0                          // initC
v_accvgpr_write acc1, 0x0                          // initC
v_accvgpr_write acc2, 0x0                          // initC
v_accvgpr_write acc3, 0x0                          // initC
v_accvgpr_write acc4, 0x0                          // initC
v_accvgpr_write acc5, 0x0                          // initC
v_accvgpr_write acc6, 0x0                          // initC
v_accvgpr_write acc7, 0x0                          // initC
v_accvgpr_write acc8, 0x0                          // initC
v_accvgpr_write acc9, 0x0                          // initC
v_accvgpr_write acc10, 0x0                         // initC
v_accvgpr_write acc11, 0x0                         // initC
v_accvgpr_write acc12, 0x0                         // initC
v_accvgpr_write acc13, 0x0                         // initC
v_accvgpr_write acc14, 0x0                         // initC
v_accvgpr_write acc15, 0x0                         // initC
v_accvgpr_write acc16, 0x0                         // initC
v_accvgpr_write acc17, 0x0                         // initC
v_accvgpr_write acc18, 0x0                         // initC
v_accvgpr_write acc19, 0x0                         // initC
v_accvgpr_write acc20, 0x0                         // initC
v_accvgpr_write acc21, 0x0                         // initC
v_accvgpr_write acc22, 0x0                         // initC
v_accvgpr_write acc23, 0x0                         // initC
v_accvgpr_write acc24, 0x0                         // initC
v_accvgpr_write acc25, 0x0                         // initC
v_accvgpr_write acc26, 0x0                         // initC
v_accvgpr_write acc27, 0x0                         // initC
v_accvgpr_write acc28, 0x0                         // initC
v_accvgpr_write acc29, 0x0                         // initC
v_accvgpr_write acc30, 0x0                         // initC
v_accvgpr_write acc31, 0x0                         // initC
v_accvgpr_write acc32, 0x0                         // initC
v_accvgpr_write acc33, 0x0                         // initC
v_accvgpr_write acc34, 0x0                         // initC
v_accvgpr_write acc35, 0x0                         // initC
v_accvgpr_write acc36, 0x0                         // initC
v_accvgpr_write acc37, 0x0                         // initC
v_accvgpr_write acc38, 0x0                         // initC
v_accvgpr_write acc39, 0x0                         // initC
v_accvgpr_write acc40, 0x0                         // initC
v_accvgpr_write acc41, 0x0                         // initC
v_accvgpr_write acc42, 0x0                         // initC
v_accvgpr_write acc43, 0x0                         // initC
v_accvgpr_write acc44, 0x0                         // initC
v_accvgpr_write acc45, 0x0                         // initC
v_accvgpr_write acc46, 0x0                         // initC
v_accvgpr_write acc47, 0x0                         // initC
v_accvgpr_write acc48, 0x0                         // initC
v_accvgpr_write acc49, 0x0                         // initC
v_accvgpr_write acc50, 0x0                         // initC
v_accvgpr_write acc51, 0x0                         // initC
v_accvgpr_write acc52, 0x0                         // initC
v_accvgpr_write acc53, 0x0                         // initC
v_accvgpr_write acc54, 0x0                         // initC
v_accvgpr_write acc55, 0x0                         // initC
v_accvgpr_write acc56, 0x0                         // initC
v_accvgpr_write acc57, 0x0                         // initC
v_accvgpr_write acc58, 0x0                         // initC
v_accvgpr_write acc59, 0x0                         // initC
v_accvgpr_write acc60, 0x0                         // initC
v_accvgpr_write acc61, 0x0                         // initC
v_accvgpr_write acc62, 0x0                         // initC
v_accvgpr_write acc63, 0x0                         // initC
v_accvgpr_write acc64, 0x0                         // initC
v_accvgpr_write acc65, 0x0                         // initC
v_accvgpr_write acc66, 0x0                         // initC
v_accvgpr_write acc67, 0x0                         // initC
v_accvgpr_write acc68, 0x0                         // initC
v_accvgpr_write acc69, 0x0                         // initC
v_accvgpr_write acc70, 0x0                         // initC
v_accvgpr_write acc71, 0x0                         // initC
v_accvgpr_write acc72, 0x0                         // initC
v_accvgpr_write acc73, 0x0                         // initC
v_accvgpr_write acc74, 0x0                         // initC
v_accvgpr_write acc75, 0x0                         // initC
v_accvgpr_write acc76, 0x0                         // initC
v_accvgpr_write acc77, 0x0                         // initC
v_accvgpr_write acc78, 0x0                         // initC
v_accvgpr_write acc79, 0x0                         // initC
v_accvgpr_write acc80, 0x0                         // initC
v_accvgpr_write acc81, 0x0                         // initC
v_accvgpr_write acc82, 0x0                         // initC
v_accvgpr_write acc83, 0x0                         // initC
v_accvgpr_write acc84, 0x0                         // initC
v_accvgpr_write acc85, 0x0                         // initC
v_accvgpr_write acc86, 0x0                         // initC
v_accvgpr_write acc87, 0x0                         // initC
v_accvgpr_write acc88, 0x0                         // initC
v_accvgpr_write acc89, 0x0                         // initC
v_accvgpr_write acc90, 0x0                         // initC
v_accvgpr_write acc91, 0x0                         // initC
v_accvgpr_write acc92, 0x0                         // initC
v_accvgpr_write acc93, 0x0                         // initC
v_accvgpr_write acc94, 0x0                         // initC
v_accvgpr_write acc95, 0x0                         // initC
v_accvgpr_write acc96, 0x0                         // initC
v_accvgpr_write acc97, 0x0                         // initC
v_accvgpr_write acc98, 0x0                         // initC
v_accvgpr_write acc99, 0x0                         // initC
v_accvgpr_write acc100, 0x0                        // initC
v_accvgpr_write acc101, 0x0                        // initC
v_accvgpr_write acc102, 0x0                        // initC
v_accvgpr_write acc103, 0x0                        // initC
v_accvgpr_write acc104, 0x0                        // initC
v_accvgpr_write acc105, 0x0                        // initC
v_accvgpr_write acc106, 0x0                        // initC
v_accvgpr_write acc107, 0x0                        // initC
v_accvgpr_write acc108, 0x0                        // initC
v_accvgpr_write acc109, 0x0                        // initC
v_accvgpr_write acc110, 0x0                        // initC
v_accvgpr_write acc111, 0x0                        // initC
v_accvgpr_write acc112, 0x0                        // initC
v_accvgpr_write acc113, 0x0                        // initC
v_accvgpr_write acc114, 0x0                        // initC
v_accvgpr_write acc115, 0x0                        // initC
v_accvgpr_write acc116, 0x0                        // initC
v_accvgpr_write acc117, 0x0                        // initC
v_accvgpr_write acc118, 0x0                        // initC
v_accvgpr_write acc119, 0x0                        // initC
v_accvgpr_write acc120, 0x0                        // initC
v_accvgpr_write acc121, 0x0                        // initC
v_accvgpr_write acc122, 0x0                        // initC
v_accvgpr_write acc123, 0x0                        // initC
v_accvgpr_write acc124, 0x0                        // initC
v_accvgpr_write acc125, 0x0                        // initC
v_accvgpr_write acc126, 0x0                        // initC
v_accvgpr_write acc127, 0x0                        // initC
v_accvgpr_write acc128, 0x0                        // initC
v_accvgpr_write acc129, 0x0                        // initC
v_accvgpr_write acc130, 0x0                        // initC
v_accvgpr_write acc131, 0x0                        // initC
v_accvgpr_write acc132, 0x0                        // initC
v_accvgpr_write acc133, 0x0                        // initC
v_accvgpr_write acc134, 0x0                        // initC
v_accvgpr_write acc135, 0x0                        // initC
v_accvgpr_write acc136, 0x0                        // initC
v_accvgpr_write acc137, 0x0                        // initC
v_accvgpr_write acc138, 0x0                        // initC
v_accvgpr_write acc139, 0x0                        // initC
v_accvgpr_write acc140, 0x0                        // initC
v_accvgpr_write acc141, 0x0                        // initC
v_accvgpr_write acc142, 0x0                        // initC
v_accvgpr_write acc143, 0x0                        // initC

s_cmp_eq_u32 s[sgprLoopCounterL], 0                // at last iteration?

/* after InitC, skip to end of prefetch last iter if numIter==0 */
s_cbranch_scc0 label_NoBranch_11                   // Only branch on scc1
s_getpc_B64 s[68:69]                               // addr of next instr
s_add_i32 s70, PrefetchGlobalLastIterEnd_5, 0x4    // target branch offset
s_add_u32 s68, s68, s70                            // add target branch offset
s_addc_u32 s69, s69, 0                             // add high and carry
s_setpc_b64 s[68:69]                               // branch to PrefetchGlobalLastIterEnd_5
label_NoBranch_11:

s_waitcnt vmcnt(0)                                 // lgkmcnt=-1 vmcnt=0 8wait for global read


/* local write a */
_ds_store_b32 v[vgprLocalWriteAddrA], v[vgprG2LA+0] offset:0 // lwoA_0_0_0_0 = (0*LSCA) + (0*LSPA)(*MT0I+PAD) = 0
_ds_store_b32 v[vgprLocalWriteAddrA], v[vgprG2LA+1] offset:128 // lwoA_1_0_0_0 = (1*LSCA) + (0*LSPA)(*MT0I+PAD) = 128
_ds_store_b32 v[vgprLocalWriteAddrA], v[vgprG2LA+2] offset:256 // lwoA_2_0_0_0 = (2*LSCA) + (0*LSPA)(*MT0I+PAD) = 256
_ds_store_b32 v[vgprLocalWriteAddrA], v[vgprG2LA+3] offset:384 // lwoA_3_0_0_0 = (3*LSCA) + (0*LSPA)(*MT0I+PAD) = 384
_ds_store_b32 v[vgprLocalWriteAddrA], v[vgprG2LA+4] offset:512 // lwoA_4_0_0_0 = (4*LSCA) + (0*LSPA)(*MT0I+PAD) = 512
_ds_store_b32 v[vgprLocalWriteAddrA], v[vgprG2LA+5] offset:640 // lwoA_5_0_0_0 = (5*LSCA) + (0*LSPA)(*MT0I+PAD) = 640
_ds_store_b32 v[vgprLocalWriteAddrA], v[vgprG2LA+6] offset:768 // lwoA_6_0_0_0 = (6*LSCA) + (0*LSPA)(*MT0I+PAD) = 768
_ds_store_b32 v[vgprLocalWriteAddrA], v[vgprG2LA+7] offset:896 // lwoA_7_0_0_0 = (7*LSCA) + (0*LSPA)(*MT0I+PAD) = 896
_ds_store_b32 v[vgprLocalWriteAddrA], v[vgprG2LA+8] offset:1024 // lwoA_8_0_0_0 = (8*LSCA) + (0*LSPA)(*MT0I+PAD) = 1024

/* local write b */
_ds_store_b32 v[vgprLocalWriteAddrB], v[vgprG2LB+0] offset:0 // lwoB_0_0_0_0 = (0*LSCB) + (0*LSPB)(*MT1J+PAD) = 0
_ds_store_b32 v[vgprLocalWriteAddrB], v[vgprG2LB+1] offset:256 // lwoB_1_0_0_0 = (1*LSCB) + (0*LSPB)(*MT1J+PAD) = 256
_ds_store_b32 v[vgprLocalWriteAddrB], v[vgprG2LB+2] offset:512 // lwoB_0_0_1_0 = (0*LSCB) + (1*LSPB)(*MT1J+PAD) = 512
_ds_store_b32 v[vgprLocalWriteAddrB], v[vgprG2LB+3] offset:768 // lwoB_1_0_1_0 = (1*LSCB) + (1*LSPB)(*MT1J+PAD) = 768


/* local write swap a */


/* (EPS=1) local write swap internal offset -> 16384 */


/* local write swap b */


/* (EPS=1) local write swap internal offset -> 16384 */


	;; [unrolled: 1-line block ×3, first 2 shown]
s_waitcnt lgkmcnt(0)                               // lgkmcnt=0 vmcnt=-10prefetch wait for local write

s_waitcnt lgkmcnt(0) & vmcnt(0)                    // force waitcnt0
s_barrier //


/* local read prefetch a */

_ds_load_b32 v[vgprValuA_X0_I0+0], v[vgprLocalReadAddrA] offset:0 // L -> Reg lro=0 swapByteOffset=0 ti=32 vIdx=0 rIdx=0 oIdx=0 buffer=0 iui=0
_ds_load_b32 v[vgprValuA_X0_I0+1], v[vgprLocalReadAddrA] offset:128 // L -> Reg lro=0 swapByteOffset=0 ti=32 vIdx=1 rIdx=0 oIdx=0 buffer=0 iui=0
_ds_load_b32 v[vgprValuA_X0_I0+2], v[vgprLocalReadAddrA] offset:256 // L -> Reg lro=0 swapByteOffset=0 ti=32 vIdx=2 rIdx=0 oIdx=0 buffer=0 iui=0
_ds_load_b32 v[vgprValuA_X0_I0+3], v[vgprLocalReadAddrA] offset:384 // L -> Reg lro=0 swapByteOffset=0 ti=32 vIdx=3 rIdx=0 oIdx=0 buffer=0 iui=0
_ds_load_b32 v[vgprValuA_X0_I0+4], v[vgprLocalReadAddrA] offset:512 // L -> Reg lro=0 swapByteOffset=0 ti=32 vIdx=4 rIdx=0 oIdx=0 buffer=0 iui=0
_ds_load_b32 v[vgprValuA_X0_I0+5], v[vgprLocalReadAddrA] offset:640 // L -> Reg lro=0 swapByteOffset=0 ti=32 vIdx=5 rIdx=0 oIdx=0 buffer=0 iui=0
_ds_load_b32 v[vgprValuA_X0_I0+6], v[vgprLocalReadAddrA] offset:768 // L -> Reg lro=0 swapByteOffset=0 ti=32 vIdx=6 rIdx=0 oIdx=0 buffer=0 iui=0
_ds_load_b32 v[vgprValuA_X0_I0+7], v[vgprLocalReadAddrA] offset:896 // L -> Reg lro=0 swapByteOffset=0 ti=32 vIdx=7 rIdx=0 oIdx=0 buffer=0 iui=0
_ds_load_b32 v[vgprValuA_X0_I0+8], v[vgprLocalReadAddrA] offset:1024 // L -> Reg lro=0 swapByteOffset=0 ti=32 vIdx=8 rIdx=0 oIdx=0 buffer=0 iui=0


/* local read prefetch b */

_ds_load_b32 v[vgprValuB_X0_I0+0], v[vgprLocalReadAddrB] offset:0 // L -> Reg lro=0 swapByteOffset=0 ti=128 vIdx=0 rIdx=0 oIdx=0 buffer=0 iui=0


/* local read inc a */

/* N/A, lro->576 */
/* self.localReadDoCntA 1 self.localReadDoCntB 1 */


/* local read inc b */

/* N/A, lro->256 */
/* self.localReadDoCntA 1 self.localReadDoCntB 1 */


	;; [unrolled: 1-line block ×3, first 2 shown]
/******************************************/
/* Unrolled Loop(s) - Begin               */
/******************************************/

openLoopL_12:
s_cmp_le_u32 s[sgprLoopCounterL], 0x1              // LoopCounterL < EndCounter
s_cbranch_scc1 LoopEndL_2                          // do not enter LoopL
LoopBeginL_1:


/******************************************/
/* Unrolled Loop 1/2 - Begin              */
/******************************************/

label_0013: // LoopCopy1 


/* Begin Each Unroll: Check VGPR.checkin for INT8 LW */


	;; [unrolled: 1-line block ×3, first 2 shown]
/* iter 0 */

/*  grEndMfmaIndex:12, lwStartMfmaIndex:19, lwEndMfmaIndex:31  */
/*  numMfmaForLR:2, barrierMfmaIndex:33 */
/*  mfmaIndex:0  */
_buffer_load_b32 v[vgprG2LA+0], v[vgprGlobalReadOffsetA+0], s[sgprSrdA:sgprSrdA+3], 0, offen offset:0 // G -> Reg 0_0_0_0
s_waitcnt lgkmcnt(0)                               // lgkmcnt=0 vmcnt=-1wait for prior local read local write old=0, new=0 newLW=0 newLR=0
v_mfma_f32_32x32x2f32 a[0+0:15+0], v[vgprValuA_X0_I0+0+0+0], v[vgprValuB_X0_I0+0+0+0], a[0:15]
/*  mfmaIndex:1  */
_ds_load_b32 v[vgprValuA_X1_I0+0], v[vgprLocalReadAddrA] offset:2304 // L -> Reg lro=576 swapByteOffset=0 ti=32 vIdx=0 rIdx=0 oIdx=0 buffer=1 iui=0
_ds_load_b32 v[vgprValuB_X1_I0+0], v[vgprLocalReadAddrB] offset:1024 // L -> Reg lro=256 swapByteOffset=0 ti=128 vIdx=0 rIdx=0 oIdx=0 buffer=1 iui=0
_ds_load_b32 v[vgprValuA_X1_I0+1], v[vgprLocalReadAddrA] offset:2432 // L -> Reg lro=576 swapByteOffset=0 ti=32 vIdx=1 rIdx=0 oIdx=0 buffer=1 iui=0
_ds_load_b32 v[vgprValuA_X1_I0+2], v[vgprLocalReadAddrA] offset:2560 // L -> Reg lro=576 swapByteOffset=0 ti=32 vIdx=2 rIdx=0 oIdx=0 buffer=1 iui=0
	;; [unrolled: 1-line block ×4, first 2 shown]
_buffer_load_b32 v[vgprG2LA+1], v[vgprGlobalReadOffsetA+0], s[sgprSrdA:sgprSrdA+3], s[sgprScalarGlobalReadOffsetA+0], offen offset:0 // G -> Reg 1_0_0_0
v_mfma_f32_32x32x2f32 a[16+0:31+0], v[vgprValuA_X0_I0+1+0+0], v[vgprValuB_X0_I0+0+0+0], a[16:31]
/*  mfmaIndex:2  */
_ds_load_b32 v[vgprValuA_X1_I0+5], v[vgprLocalReadAddrA] offset:2944 // L -> Reg lro=576 swapByteOffset=0 ti=32 vIdx=5 rIdx=0 oIdx=0 buffer=1 iui=0
_ds_load_b32 v[vgprValuA_X1_I0+6], v[vgprLocalReadAddrA] offset:3072 // L -> Reg lro=576 swapByteOffset=0 ti=32 vIdx=6 rIdx=0 oIdx=0 buffer=1 iui=0
	;; [unrolled: 1-line block ×4, first 2 shown]
/* localReadsVacancy: latencyLeft 5 */
_buffer_load_b32 v[vgprG2LA+2], v[vgprGlobalReadOffsetA+0], s[sgprSrdA:sgprSrdA+3], s[sgprScalarGlobalReadOffsetA+1], offen offset:0 // G -> Reg 2_0_0_0
v_mfma_f32_32x32x2f32 a[32+0:47+0], v[vgprValuA_X0_I0+2+0+0], v[vgprValuB_X0_I0+0+0+0], a[32:47]
/*  mfmaIndex:3  */
/* localReadsVacancy: latencyLeft 13 */
_buffer_load_b32 v[vgprG2LA+3], v[vgprGlobalReadOffsetA+0], s[sgprSrdA:sgprSrdA+3], s[sgprScalarGlobalReadOffsetA+2], offen offset:0 // G -> Reg 3_0_0_0
v_mfma_f32_32x32x2f32 a[48+0:63+0], v[vgprValuA_X0_I0+3+0+0], v[vgprValuB_X0_I0+0+0+0], a[48:63]
/*  mfmaIndex:4  */
/* localReadsVacancy: latencyLeft 13 */
_buffer_load_b32 v[vgprG2LA+4], v[vgprGlobalReadOffsetA+0], s[sgprSrdA:sgprSrdA+3], s[sgprScalarGlobalReadOffsetA+3], offen offset:0 // G -> Reg 4_0_0_0
v_mfma_f32_32x32x2f32 a[64+0:79+0], v[vgprValuA_X0_I0+4+0+0], v[vgprValuB_X0_I0+0+0+0], a[64:79]
/*  mfmaIndex:5  */
/* localReadsVacancy: latencyLeft 13 */
_buffer_load_b32 v[vgprG2LA+5], v[vgprGlobalReadOffsetA+0], s[sgprSrdA:sgprSrdA+3], s[sgprScalarGlobalReadOffsetA+4], offen offset:0 // G -> Reg 5_0_0_0
v_mfma_f32_32x32x2f32 a[80+0:95+0], v[vgprValuA_X0_I0+5+0+0], v[vgprValuB_X0_I0+0+0+0], a[80:95]
/*  mfmaIndex:6  */
/* localReadsVacancy: latencyLeft 13 */
_buffer_load_b32 v[vgprG2LA+6], v[vgprGlobalReadOffsetA+0], s[sgprSrdA:sgprSrdA+3], s[sgprScalarGlobalReadOffsetA+5], offen offset:0 // G -> Reg 6_0_0_0
v_mfma_f32_32x32x2f32 a[96+0:111+0], v[vgprValuA_X0_I0+6+0+0], v[vgprValuB_X0_I0+0+0+0], a[96:111]
/*  mfmaIndex:7  */
/* localReadsVacancy: latencyLeft 13 */
_buffer_load_b32 v[vgprG2LA+7], v[vgprGlobalReadOffsetA+0], s[sgprSrdA:sgprSrdA+3], s[sgprScalarGlobalReadOffsetA+6], offen offset:0 // G -> Reg 7_0_0_0
v_mfma_f32_32x32x2f32 a[112+0:127+0], v[vgprValuA_X0_I0+7+0+0], v[vgprValuB_X0_I0+0+0+0], a[112:127]
/*  mfmaIndex:8  */
/* localReadsVacancy: latencyLeft 13 */
_buffer_load_b32 v[vgprG2LA+8], v[vgprGlobalReadOffsetA+0], s[sgprSrdA:sgprSrdA+3], s[sgprScalarGlobalReadOffsetA+7], offen offset:0 // G -> Reg 8_0_0_0
v_mfma_f32_32x32x2f32 a[128+0:143+0], v[vgprValuA_X0_I0+8+0+0], v[vgprValuB_X0_I0+0+0+0], a[128:143]
/* numPrefetchIter=0 */
/* dataAtIterA=-1 numReadsIterA=1 skipReadsIterA=1 readsPerIterA=9 */
/* dataAtIterB=-1 numReadsIterB=1 skipReadsIterB=1 readsPerIterB=1 */


/* iter 1 */

/*  grEndMfmaIndex:12, lwStartMfmaIndex:19, lwEndMfmaIndex:31  */
/*  numMfmaForLR:2, barrierMfmaIndex:33 */
/*  mfmaIndex:9  */
_ds_load_b32 v[vgprValuA_X0_I0+0], v[vgprLocalReadAddrA] offset:4608 // L -> Reg lro=1152 swapByteOffset=0 ti=32 vIdx=0 rIdx=0 oIdx=0 buffer=0 iui=0
_ds_load_b32 v[vgprValuB_X0_I0+0], v[vgprLocalReadAddrB] offset:2048 // L -> Reg lro=512 swapByteOffset=0 ti=128 vIdx=0 rIdx=0 oIdx=0 buffer=0 iui=0
_ds_load_b32 v[vgprValuA_X0_I0+1], v[vgprLocalReadAddrA] offset:4736 // L -> Reg lro=1152 swapByteOffset=0 ti=32 vIdx=1 rIdx=0 oIdx=0 buffer=0 iui=0
_ds_load_b32 v[vgprValuA_X0_I0+2], v[vgprLocalReadAddrA] offset:4864 // L -> Reg lro=1152 swapByteOffset=0 ti=32 vIdx=2 rIdx=0 oIdx=0 buffer=0 iui=0
	;; [unrolled: 1-line block ×4, first 2 shown]
_buffer_load_b32 v[vgprG2LB+0], v[vgprGlobalReadOffsetB+0], s[sgprSrdB:sgprSrdB+3], 0, offen offset:0 // G -> Reg 0_0_0_0
s_waitcnt lgkmcnt(6)                               // lgkmcnt=0 vmcnt=-1wait for prior local read local write old=0, new=6 newLW=0 newLR=6
v_mfma_f32_32x32x2f32 a[0+0:15+0], v[vgprValuA_X1_I0+0+0+0], v[vgprValuB_X1_I0+0+0+0], a[0:15]
/*  mfmaIndex:10  */
_ds_load_b32 v[vgprValuA_X0_I0+5], v[vgprLocalReadAddrA] offset:5248 // L -> Reg lro=1152 swapByteOffset=0 ti=32 vIdx=5 rIdx=0 oIdx=0 buffer=0 iui=0
_ds_load_b32 v[vgprValuA_X0_I0+6], v[vgprLocalReadAddrA] offset:5376 // L -> Reg lro=1152 swapByteOffset=0 ti=32 vIdx=6 rIdx=0 oIdx=0 buffer=0 iui=0
	;; [unrolled: 1-line block ×4, first 2 shown]
/* localReadsVacancy: latencyLeft 5 */
_buffer_load_b32 v[vgprG2LB+1], v[vgprGlobalReadOffsetB+0], s[sgprSrdB:sgprSrdB+3], s[sgprScalarGlobalReadOffsetB+0], offen offset:0 // G -> Reg 1_0_0_0
v_mfma_f32_32x32x2f32 a[16+0:31+0], v[vgprValuA_X1_I0+1+0+0], v[vgprValuB_X1_I0+0+0+0], a[16:31]
/*  mfmaIndex:11  */
/* localReadsVacancy: latencyLeft 13 */
_buffer_load_b32 v[vgprG2LB+2], v[vgprGlobalReadOffsetB+0], s[sgprSrdB:sgprSrdB+3], s[sgprScalarGlobalReadOffsetB+1], offen offset:0 // G -> Reg 0_0_1_0
v_mfma_f32_32x32x2f32 a[32+0:47+0], v[vgprValuA_X1_I0+2+0+0], v[vgprValuB_X1_I0+0+0+0], a[32:47]
/*  mfmaIndex:12  */
/* localReadsVacancy: latencyLeft 13 */
_buffer_load_b32 v[vgprG2LB+3], v[vgprGlobalReadOffsetB+0], s[sgprSrdB:sgprSrdB+3], s[sgprScalarGlobalReadOffsetB+2], offen offset:0 // G -> Reg 1_0_1_0
v_mfma_f32_32x32x2f32 a[48+0:63+0], v[vgprValuA_X1_I0+3+0+0], v[vgprValuB_X1_I0+0+0+0], a[48:63]
/*  mfmaIndex:13  */
/* localReadsVacancy: latencyLeft 13 */

/* global read inc A loopL */
s_cmp_eq_u32 s[sgprLoopCounterL], s[sgprStaggerUIter] // Is this the wrapIter?
s_cselect_b32 s68, s[sgprWrapUA+0], s[sgprGlobalReadIncsA+0] // incLower <- ?
s_cselect_b32 s69, s[sgprWrapUA+1], 0              // incUpper <- ?
s_add_u32 s[sgprSrdA+0], s[sgprSrdA+0], s68        // gra SRD += inc(lower)
s_addc_u32  s[sgprSrdA+1], s[sgprSrdA+1], s69      // gra SRD += inc(upper)
s_sub_u32 s[sgprShadowLimitA+0], s[sgprShadowLimitA+0], s68 // limit -= inc)
s_subb_u32 s[sgprShadowLimitA+1], s[sgprShadowLimitA+1], s69 // limit -= inc)
v_mfma_f32_32x32x2f32 a[64+0:79+0], v[vgprValuA_X1_I0+4+0+0], v[vgprValuB_X1_I0+0+0+0], a[64:79]
/*  mfmaIndex:14  */
/* localReadsVacancy: latencyLeft 13 */
s_cmp_eq_u32 s[sgprShadowLimitA+1], 0              // are we within 2^32?
s_cselect_b32 s[sgprSrdA+2], s[sgprShadowLimitA+0], BufferLimitA // Move shadow to real if we are within 2^32

/* global read inc B loopL */
s_cmp_eq_u32 s[sgprLoopCounterL], s[sgprStaggerUIter] // Is this the wrapIter?
s_cselect_b32 s68, s[sgprWrapUB+0], s[sgprGlobalReadIncsB+0] // incLower <- ?
s_cselect_b32 s69, s[sgprWrapUB+1], 0              // incUpper <- ?
s_add_u32 s[sgprSrdB+0], s[sgprSrdB+0], s68        // gra SRD += inc(lower)
s_addc_u32  s[sgprSrdB+1], s[sgprSrdB+1], s69      // gra SRD += inc(upper)
v_mfma_f32_32x32x2f32 a[80+0:95+0], v[vgprValuA_X1_I0+5+0+0], v[vgprValuB_X1_I0+0+0+0], a[80:95]
/*  mfmaIndex:15  */
/* localReadsVacancy: latencyLeft 13 */
s_sub_u32 s[sgprShadowLimitB+0], s[sgprShadowLimitB+0], s68 // limit -= inc)
s_subb_u32 s[sgprShadowLimitB+1], s[sgprShadowLimitB+1], s69 // limit -= inc)
s_cmp_eq_u32 s[sgprShadowLimitB+1], 0              // are we within 2^32?
s_cselect_b32 s[sgprSrdB+2], s[sgprShadowLimitB+0], BufferLimitB // Move shadow to real if we are within 2^32
v_mfma_f32_32x32x2f32 a[96+0:111+0], v[vgprValuA_X1_I0+6+0+0], v[vgprValuB_X1_I0+0+0+0], a[96:111]
/*  mfmaIndex:16  */
/* localReadsVacancy: latencyLeft 13 */
v_mfma_f32_32x32x2f32 a[112+0:127+0], v[vgprValuA_X1_I0+7+0+0], v[vgprValuB_X1_I0+0+0+0], a[112:127]
/*  mfmaIndex:17  */
/* localReadsVacancy: latencyLeft 13 */
v_mfma_f32_32x32x2f32 a[128+0:143+0], v[vgprValuA_X1_I0+8+0+0], v[vgprValuB_X1_I0+0+0+0], a[128:143]
/* numPrefetchIter=0 */
/* dataAtIterA=0 numReadsIterA=2 skipReadsIterA=1 readsPerIterA=9 */
/* dataAtIterB=0 numReadsIterB=2 skipReadsIterB=1 readsPerIterB=1 */


/* iter 2 (reset local read pointers iteration)  (swap local read pointers iteration)  */

/*  grEndMfmaIndex:12, lwStartMfmaIndex:19, lwEndMfmaIndex:31  */
/*  numMfmaForLR:2, barrierMfmaIndex:33 */
/*  mfmaIndex:18  */
_ds_load_b32 v[vgprValuA_X1_I0+0], v[vgprLocalReadAddrA] offset:6912 // L -> Reg lro=1728 swapByteOffset=0 ti=32 vIdx=0 rIdx=0 oIdx=0 buffer=1 iui=0
_ds_load_b32 v[vgprValuB_X1_I0+0], v[vgprLocalReadAddrB] offset:3072 // L -> Reg lro=768 swapByteOffset=0 ti=128 vIdx=0 rIdx=0 oIdx=0 buffer=1 iui=0
_ds_load_b32 v[vgprValuA_X1_I0+1], v[vgprLocalReadAddrA] offset:7040 // L -> Reg lro=1728 swapByteOffset=0 ti=32 vIdx=1 rIdx=0 oIdx=0 buffer=1 iui=0
_ds_load_b32 v[vgprValuA_X1_I0+2], v[vgprLocalReadAddrA] offset:7168 // L -> Reg lro=1728 swapByteOffset=0 ti=32 vIdx=2 rIdx=0 oIdx=0 buffer=1 iui=0
	;; [unrolled: 1-line block ×4, first 2 shown]
s_waitcnt lgkmcnt(6)                               // lgkmcnt=0 vmcnt=-1wait for prior local read local write old=0, new=6 newLW=0 newLR=6
v_mfma_f32_32x32x2f32 a[0+0:15+0], v[vgprValuA_X0_I0+0+0+0], v[vgprValuB_X0_I0+0+0+0], a[0:15]
/*  mfmaIndex:19  */
_ds_load_b32 v[vgprValuA_X1_I0+5], v[vgprLocalReadAddrA] offset:7552 // L -> Reg lro=1728 swapByteOffset=0 ti=32 vIdx=5 rIdx=0 oIdx=0 buffer=1 iui=0
_ds_load_b32 v[vgprValuA_X1_I0+6], v[vgprLocalReadAddrA] offset:7680 // L -> Reg lro=1728 swapByteOffset=0 ti=32 vIdx=6 rIdx=0 oIdx=0 buffer=1 iui=0
	;; [unrolled: 1-line block ×4, first 2 shown]
/* localReadsVacancy: latencyLeft 1 */
/* sched write - iter 2 writesPerItem=1 */
s_waitcnt vmcnt(0)                                 // lgkmcnt=-1 vmcnt=0wait for global read before writing to local
_ds_store_b32 v[vgprLocalWriteAddrA], v[vgprG2LA+0] offset:16384 // lwoA_0_0_0_0 = (0*LSCA) + (0*LSPA)(*MT0I+PAD) = 16384
v_mfma_f32_32x32x2f32 a[16+0:31+0], v[vgprValuA_X0_I0+1+0+0], v[vgprValuB_X0_I0+0+0+0], a[16:31]
/*  mfmaIndex:20  */
/* localReadsVacancy: latencyLeft 9 */
/* sched write - iter 2 writesPerItem=1 */
s_waitcnt vmcnt(0)                                 // lgkmcnt=-1 vmcnt=0wait for global read before writing to local
_ds_store_b32 v[vgprLocalWriteAddrA], v[vgprG2LA+1] offset:16512 // lwoA_1_0_0_0 = (1*LSCA) + (0*LSPA)(*MT0I+PAD) = 16512
v_mfma_f32_32x32x2f32 a[32+0:47+0], v[vgprValuA_X0_I0+2+0+0], v[vgprValuB_X0_I0+0+0+0], a[32:47]
/*  mfmaIndex:21  */
/* localReadsVacancy: latencyLeft 9 */
/* sched write - iter 2 writesPerItem=1 */
s_waitcnt vmcnt(0)                                 // lgkmcnt=-1 vmcnt=0wait for global read before writing to local
_ds_store_b32 v[vgprLocalWriteAddrA], v[vgprG2LA+2] offset:16640 // lwoA_2_0_0_0 = (2*LSCA) + (0*LSPA)(*MT0I+PAD) = 16640
v_mfma_f32_32x32x2f32 a[48+0:63+0], v[vgprValuA_X0_I0+3+0+0], v[vgprValuB_X0_I0+0+0+0], a[48:63]
/*  mfmaIndex:22  */
/* localReadsVacancy: latencyLeft 9 */
/* sched write - iter 2 writesPerItem=1 */
s_waitcnt vmcnt(0)                                 // lgkmcnt=-1 vmcnt=0wait for global read before writing to local
_ds_store_b32 v[vgprLocalWriteAddrA], v[vgprG2LA+3] offset:16768 // lwoA_3_0_0_0 = (3*LSCA) + (0*LSPA)(*MT0I+PAD) = 16768
v_mfma_f32_32x32x2f32 a[64+0:79+0], v[vgprValuA_X0_I0+4+0+0], v[vgprValuB_X0_I0+0+0+0], a[64:79]
/*  mfmaIndex:23  */
/* localReadsVacancy: latencyLeft 9 */
/* sched write - iter 2 writesPerItem=1 */
s_waitcnt vmcnt(0)                                 // lgkmcnt=-1 vmcnt=0wait for global read before writing to local
_ds_store_b32 v[vgprLocalWriteAddrA], v[vgprG2LA+4] offset:16896 // lwoA_4_0_0_0 = (4*LSCA) + (0*LSPA)(*MT0I+PAD) = 16896
v_mfma_f32_32x32x2f32 a[80+0:95+0], v[vgprValuA_X0_I0+5+0+0], v[vgprValuB_X0_I0+0+0+0], a[80:95]
/*  mfmaIndex:24  */
/* localReadsVacancy: latencyLeft 9 */
/* sched write - iter 2 writesPerItem=1 */
s_waitcnt vmcnt(0)                                 // lgkmcnt=-1 vmcnt=0wait for global read before writing to local
_ds_store_b32 v[vgprLocalWriteAddrA], v[vgprG2LA+5] offset:17024 // lwoA_5_0_0_0 = (5*LSCA) + (0*LSPA)(*MT0I+PAD) = 17024
v_mfma_f32_32x32x2f32 a[96+0:111+0], v[vgprValuA_X0_I0+6+0+0], v[vgprValuB_X0_I0+0+0+0], a[96:111]
/*  mfmaIndex:25  */
/* localReadsVacancy: latencyLeft 9 */
/* sched write - iter 2 writesPerItem=1 */
s_waitcnt vmcnt(0)                                 // lgkmcnt=-1 vmcnt=0wait for global read before writing to local
_ds_store_b32 v[vgprLocalWriteAddrA], v[vgprG2LA+6] offset:17152 // lwoA_6_0_0_0 = (6*LSCA) + (0*LSPA)(*MT0I+PAD) = 17152
v_mfma_f32_32x32x2f32 a[112+0:127+0], v[vgprValuA_X0_I0+7+0+0], v[vgprValuB_X0_I0+0+0+0], a[112:127]
/*  mfmaIndex:26  */
/* localReadsVacancy: latencyLeft 9 */
/* sched write - iter 2 writesPerItem=1 */
s_waitcnt vmcnt(0)                                 // lgkmcnt=-1 vmcnt=0wait for global read before writing to local
_ds_store_b32 v[vgprLocalWriteAddrA], v[vgprG2LA+7] offset:17280 // lwoA_7_0_0_0 = (7*LSCA) + (0*LSPA)(*MT0I+PAD) = 17280

/* local read swap offsets a */

/* local read swap internal offset -> 16384 */

/* local read swap offsets b */

/* local read swap internal offset -> 16384 */

/* local read init pointers a */

/* localReadInitPointers */

/* local read init pointers b */

/* localReadInitPointers */
v_mfma_f32_32x32x2f32 a[128+0:143+0], v[vgprValuA_X0_I0+8+0+0], v[vgprValuB_X0_I0+0+0+0], a[128:143]
/* numPrefetchIter=0 */
/* dataAtIterA=1 numReadsIterA=3 skipReadsIterA=1 readsPerIterA=9 */
/* dataAtIterB=1 numReadsIterB=3 skipReadsIterB=1 readsPerIterB=1 */


/* iter 3 (swap and reset local write pointers iteration)  */

/*  grEndMfmaIndex:12, lwStartMfmaIndex:19, lwEndMfmaIndex:31  */
/*  numMfmaForLR:2, barrierMfmaIndex:33 */
/*  mfmaIndex:27  */
/* sched write - iter 3 writesPerItem=1 */
s_waitcnt vmcnt(0)                                 // lgkmcnt=-1 vmcnt=0wait for global read before writing to local
_ds_store_b32 v[vgprLocalWriteAddrA], v[vgprG2LA+8] offset:17408 // lwoA_8_0_0_0 = (8*LSCA) + (0*LSPA)(*MT0I+PAD) = 17408
s_waitcnt lgkmcnt(9)                               // lgkmcnt=0 vmcnt=-1wait for prior local read local write old=0, new=9 newLW=9 newLR=0
v_mfma_f32_32x32x2f32 a[0+0:15+0], v[vgprValuA_X1_I0+0+0+0], v[vgprValuB_X1_I0+0+0+0], a[0:15]
/*  mfmaIndex:28  */
/* sched write - iter 3 writesPerItem=1 */
s_waitcnt vmcnt(0)                                 // lgkmcnt=-1 vmcnt=0wait for global read before writing to local
_ds_store_b32 v[vgprLocalWriteAddrB], v[vgprG2LB+0] offset:16384 // lwoB_0_0_0_0 = (0*LSCB) + (0*LSPB)(*MT1J+PAD) = 16384
v_mfma_f32_32x32x2f32 a[16+0:31+0], v[vgprValuA_X1_I0+1+0+0], v[vgprValuB_X1_I0+0+0+0], a[16:31]
/*  mfmaIndex:29  */
/* sched write - iter 3 writesPerItem=1 */
s_waitcnt vmcnt(0)                                 // lgkmcnt=-1 vmcnt=0wait for global read before writing to local
_ds_store_b32 v[vgprLocalWriteAddrB], v[vgprG2LB+1] offset:16640 // lwoB_1_0_0_0 = (1*LSCB) + (0*LSPB)(*MT1J+PAD) = 16640
v_mfma_f32_32x32x2f32 a[32+0:47+0], v[vgprValuA_X1_I0+2+0+0], v[vgprValuB_X1_I0+0+0+0], a[32:47]
/*  mfmaIndex:30  */
/* sched write - iter 3 writesPerItem=1 */
s_waitcnt vmcnt(0)                                 // lgkmcnt=-1 vmcnt=0wait for global read before writing to local
_ds_store_b32 v[vgprLocalWriteAddrB], v[vgprG2LB+2] offset:16896 // lwoB_0_0_1_0 = (0*LSCB) + (1*LSPB)(*MT1J+PAD) = 16896
v_mfma_f32_32x32x2f32 a[48+0:63+0], v[vgprValuA_X1_I0+3+0+0], v[vgprValuB_X1_I0+0+0+0], a[48:63]
/*  mfmaIndex:31  */
/* sched write - iter 3 writesPerItem=1 */
s_waitcnt vmcnt(0)                                 // lgkmcnt=-1 vmcnt=0wait for global read before writing to local
_ds_store_b32 v[vgprLocalWriteAddrB], v[vgprG2LB+3] offset:17152 // lwoB_1_0_1_0 = (1*LSCB) + (1*LSPB)(*MT1J+PAD) = 17152

/* local write swap offsets a */

/* (EPS=1) local write swap internal offset -> 0 */

/* local write swap offsets b */

/* (EPS=1) local write swap internal offset -> 0 */
v_mfma_f32_32x32x2f32 a[64+0:79+0], v[vgprValuA_X1_I0+4+0+0], v[vgprValuB_X1_I0+0+0+0], a[64:79]
/*  mfmaIndex:32  */
v_mfma_f32_32x32x2f32 a[80+0:95+0], v[vgprValuA_X1_I0+5+0+0], v[vgprValuB_X1_I0+0+0+0], a[80:95]
/*  mfmaIndex:33  */
s_waitcnt lgkmcnt(0)                               // lgkmcnt=0 vmcnt=-13wait for local write
s_waitcnt lgkmcnt(0) & vmcnt(0)                    // force waitcnt0
s_barrier //
v_mfma_f32_32x32x2f32 a[96+0:111+0], v[vgprValuA_X1_I0+6+0+0], v[vgprValuB_X1_I0+0+0+0], a[96:111]
/*  mfmaIndex:34  */
_ds_load_b32 v[vgprValuA_X0_I0+0], v[vgprLocalReadAddrA] offset:16384 // L -> Reg lro=0 swapByteOffset=16384 ti=32 vIdx=0 rIdx=0 oIdx=0 buffer=0 iui=0
_ds_load_b32 v[vgprValuB_X0_I0+0], v[vgprLocalReadAddrB] offset:16384 // L -> Reg lro=0 swapByteOffset=16384 ti=128 vIdx=0 rIdx=0 oIdx=0 buffer=0 iui=0
_ds_load_b32 v[vgprValuA_X0_I0+1], v[vgprLocalReadAddrA] offset:16512 // L -> Reg lro=0 swapByteOffset=16384 ti=32 vIdx=1 rIdx=0 oIdx=0 buffer=0 iui=0
_ds_load_b32 v[vgprValuA_X0_I0+2], v[vgprLocalReadAddrA] offset:16640 // L -> Reg lro=0 swapByteOffset=16384 ti=32 vIdx=2 rIdx=0 oIdx=0 buffer=0 iui=0
	;; [unrolled: 1-line block ×4, first 2 shown]
v_mfma_f32_32x32x2f32 a[112+0:127+0], v[vgprValuA_X1_I0+7+0+0], v[vgprValuB_X1_I0+0+0+0], a[112:127]
/*  mfmaIndex:35  */
_ds_load_b32 v[vgprValuA_X0_I0+5], v[vgprLocalReadAddrA] offset:17024 // L -> Reg lro=0 swapByteOffset=16384 ti=32 vIdx=5 rIdx=0 oIdx=0 buffer=0 iui=0
_ds_load_b32 v[vgprValuA_X0_I0+6], v[vgprLocalReadAddrA] offset:17152 // L -> Reg lro=0 swapByteOffset=16384 ti=32 vIdx=6 rIdx=0 oIdx=0 buffer=0 iui=0
	;; [unrolled: 1-line block ×4, first 2 shown]
v_mfma_f32_32x32x2f32 a[128+0:143+0], v[vgprValuA_X1_I0+8+0+0], v[vgprValuB_X1_I0+0+0+0], a[128:143]
/* numPrefetchIter=1 */
/* dataAtIterA=2 numReadsIterA=3 skipReadsIterA=1 readsPerIterA=9 */
/* dataAtIterB=2 numReadsIterB=3 skipReadsIterB=1 readsPerIterB=1 */


/******************************************/
/* Unrolled Loop - End 1/2                */
/******************************************/


/* closeLoop loopL finalLoop=0 tailLoop=0 */
s_sub_u32 s[sgprLoopCounterL], s[sgprLoopCounterL], 1 // dec counterL
s_cmp_eq_i32 s[sgprLoopCounterL], 0x1              // counterL==1
s_cbranch_scc1 LoopEndL_oddexit_3                  // exit LoopL


/******************************************/
/* Unrolled Loop 2/2 - Begin              */
/******************************************/

label_0014: // LoopCopy2 


/* Begin Each Unroll: Check VGPR.checkin for INT8 LW */


	;; [unrolled: 1-line block ×3, first 2 shown]
/* iter 0 */

/*  grEndMfmaIndex:12, lwStartMfmaIndex:19, lwEndMfmaIndex:31  */
/*  numMfmaForLR:2, barrierMfmaIndex:33 */
/*  mfmaIndex:0  */
_buffer_load_b32 v[vgprG2LA+0], v[vgprGlobalReadOffsetA+0], s[sgprSrdA:sgprSrdA+3], 0, offen offset:0 // G -> Reg 0_0_0_0
s_waitcnt lgkmcnt(0)                               // lgkmcnt=0 vmcnt=-1wait for prior local read local write old=0, new=0 newLW=0 newLR=0
v_mfma_f32_32x32x2f32 a[0+0:15+0], v[vgprValuA_X0_I0+0+0+0], v[vgprValuB_X0_I0+0+0+0], a[0:15]
/*  mfmaIndex:1  */
_ds_load_b32 v[vgprValuA_X1_I0+0], v[vgprLocalReadAddrA] offset:18688 // L -> Reg lro=576 swapByteOffset=16384 ti=32 vIdx=0 rIdx=0 oIdx=0 buffer=1 iui=0
_ds_load_b32 v[vgprValuB_X1_I0+0], v[vgprLocalReadAddrB] offset:17408 // L -> Reg lro=256 swapByteOffset=16384 ti=128 vIdx=0 rIdx=0 oIdx=0 buffer=1 iui=0
_ds_load_b32 v[vgprValuA_X1_I0+1], v[vgprLocalReadAddrA] offset:18816 // L -> Reg lro=576 swapByteOffset=16384 ti=32 vIdx=1 rIdx=0 oIdx=0 buffer=1 iui=0
_ds_load_b32 v[vgprValuA_X1_I0+2], v[vgprLocalReadAddrA] offset:18944 // L -> Reg lro=576 swapByteOffset=16384 ti=32 vIdx=2 rIdx=0 oIdx=0 buffer=1 iui=0
	;; [unrolled: 1-line block ×4, first 2 shown]
_buffer_load_b32 v[vgprG2LA+1], v[vgprGlobalReadOffsetA+0], s[sgprSrdA:sgprSrdA+3], s[sgprScalarGlobalReadOffsetA+0], offen offset:0 // G -> Reg 1_0_0_0
v_mfma_f32_32x32x2f32 a[16+0:31+0], v[vgprValuA_X0_I0+1+0+0], v[vgprValuB_X0_I0+0+0+0], a[16:31]
/*  mfmaIndex:2  */
_ds_load_b32 v[vgprValuA_X1_I0+5], v[vgprLocalReadAddrA] offset:19328 // L -> Reg lro=576 swapByteOffset=16384 ti=32 vIdx=5 rIdx=0 oIdx=0 buffer=1 iui=0
_ds_load_b32 v[vgprValuA_X1_I0+6], v[vgprLocalReadAddrA] offset:19456 // L -> Reg lro=576 swapByteOffset=16384 ti=32 vIdx=6 rIdx=0 oIdx=0 buffer=1 iui=0
	;; [unrolled: 1-line block ×4, first 2 shown]
/* localReadsVacancy: latencyLeft 5 */
_buffer_load_b32 v[vgprG2LA+2], v[vgprGlobalReadOffsetA+0], s[sgprSrdA:sgprSrdA+3], s[sgprScalarGlobalReadOffsetA+1], offen offset:0 // G -> Reg 2_0_0_0
v_mfma_f32_32x32x2f32 a[32+0:47+0], v[vgprValuA_X0_I0+2+0+0], v[vgprValuB_X0_I0+0+0+0], a[32:47]
/*  mfmaIndex:3  */
/* localReadsVacancy: latencyLeft 13 */
_buffer_load_b32 v[vgprG2LA+3], v[vgprGlobalReadOffsetA+0], s[sgprSrdA:sgprSrdA+3], s[sgprScalarGlobalReadOffsetA+2], offen offset:0 // G -> Reg 3_0_0_0
v_mfma_f32_32x32x2f32 a[48+0:63+0], v[vgprValuA_X0_I0+3+0+0], v[vgprValuB_X0_I0+0+0+0], a[48:63]
/*  mfmaIndex:4  */
/* localReadsVacancy: latencyLeft 13 */
_buffer_load_b32 v[vgprG2LA+4], v[vgprGlobalReadOffsetA+0], s[sgprSrdA:sgprSrdA+3], s[sgprScalarGlobalReadOffsetA+3], offen offset:0 // G -> Reg 4_0_0_0
v_mfma_f32_32x32x2f32 a[64+0:79+0], v[vgprValuA_X0_I0+4+0+0], v[vgprValuB_X0_I0+0+0+0], a[64:79]
/*  mfmaIndex:5  */
/* localReadsVacancy: latencyLeft 13 */
_buffer_load_b32 v[vgprG2LA+5], v[vgprGlobalReadOffsetA+0], s[sgprSrdA:sgprSrdA+3], s[sgprScalarGlobalReadOffsetA+4], offen offset:0 // G -> Reg 5_0_0_0
v_mfma_f32_32x32x2f32 a[80+0:95+0], v[vgprValuA_X0_I0+5+0+0], v[vgprValuB_X0_I0+0+0+0], a[80:95]
/*  mfmaIndex:6  */
/* localReadsVacancy: latencyLeft 13 */
_buffer_load_b32 v[vgprG2LA+6], v[vgprGlobalReadOffsetA+0], s[sgprSrdA:sgprSrdA+3], s[sgprScalarGlobalReadOffsetA+5], offen offset:0 // G -> Reg 6_0_0_0
v_mfma_f32_32x32x2f32 a[96+0:111+0], v[vgprValuA_X0_I0+6+0+0], v[vgprValuB_X0_I0+0+0+0], a[96:111]
/*  mfmaIndex:7  */
/* localReadsVacancy: latencyLeft 13 */
_buffer_load_b32 v[vgprG2LA+7], v[vgprGlobalReadOffsetA+0], s[sgprSrdA:sgprSrdA+3], s[sgprScalarGlobalReadOffsetA+6], offen offset:0 // G -> Reg 7_0_0_0
v_mfma_f32_32x32x2f32 a[112+0:127+0], v[vgprValuA_X0_I0+7+0+0], v[vgprValuB_X0_I0+0+0+0], a[112:127]
/*  mfmaIndex:8  */
/* localReadsVacancy: latencyLeft 13 */
_buffer_load_b32 v[vgprG2LA+8], v[vgprGlobalReadOffsetA+0], s[sgprSrdA:sgprSrdA+3], s[sgprScalarGlobalReadOffsetA+7], offen offset:0 // G -> Reg 8_0_0_0
v_mfma_f32_32x32x2f32 a[128+0:143+0], v[vgprValuA_X0_I0+8+0+0], v[vgprValuB_X0_I0+0+0+0], a[128:143]
/* numPrefetchIter=0 */
/* dataAtIterA=-1 numReadsIterA=1 skipReadsIterA=1 readsPerIterA=9 */
/* dataAtIterB=-1 numReadsIterB=1 skipReadsIterB=1 readsPerIterB=1 */


/* iter 1 */

/*  grEndMfmaIndex:12, lwStartMfmaIndex:19, lwEndMfmaIndex:31  */
/*  numMfmaForLR:2, barrierMfmaIndex:33 */
/*  mfmaIndex:9  */
_ds_load_b32 v[vgprValuA_X0_I0+0], v[vgprLocalReadAddrA] offset:20992 // L -> Reg lro=1152 swapByteOffset=16384 ti=32 vIdx=0 rIdx=0 oIdx=0 buffer=0 iui=0
_ds_load_b32 v[vgprValuB_X0_I0+0], v[vgprLocalReadAddrB] offset:18432 // L -> Reg lro=512 swapByteOffset=16384 ti=128 vIdx=0 rIdx=0 oIdx=0 buffer=0 iui=0
_ds_load_b32 v[vgprValuA_X0_I0+1], v[vgprLocalReadAddrA] offset:21120 // L -> Reg lro=1152 swapByteOffset=16384 ti=32 vIdx=1 rIdx=0 oIdx=0 buffer=0 iui=0
_ds_load_b32 v[vgprValuA_X0_I0+2], v[vgprLocalReadAddrA] offset:21248 // L -> Reg lro=1152 swapByteOffset=16384 ti=32 vIdx=2 rIdx=0 oIdx=0 buffer=0 iui=0
	;; [unrolled: 1-line block ×4, first 2 shown]
_buffer_load_b32 v[vgprG2LB+0], v[vgprGlobalReadOffsetB+0], s[sgprSrdB:sgprSrdB+3], 0, offen offset:0 // G -> Reg 0_0_0_0
s_waitcnt lgkmcnt(6)                               // lgkmcnt=0 vmcnt=-1wait for prior local read local write old=0, new=6 newLW=0 newLR=6
v_mfma_f32_32x32x2f32 a[0+0:15+0], v[vgprValuA_X1_I0+0+0+0], v[vgprValuB_X1_I0+0+0+0], a[0:15]
/*  mfmaIndex:10  */
_ds_load_b32 v[vgprValuA_X0_I0+5], v[vgprLocalReadAddrA] offset:21632 // L -> Reg lro=1152 swapByteOffset=16384 ti=32 vIdx=5 rIdx=0 oIdx=0 buffer=0 iui=0
_ds_load_b32 v[vgprValuA_X0_I0+6], v[vgprLocalReadAddrA] offset:21760 // L -> Reg lro=1152 swapByteOffset=16384 ti=32 vIdx=6 rIdx=0 oIdx=0 buffer=0 iui=0
	;; [unrolled: 1-line block ×4, first 2 shown]
/* localReadsVacancy: latencyLeft 5 */
_buffer_load_b32 v[vgprG2LB+1], v[vgprGlobalReadOffsetB+0], s[sgprSrdB:sgprSrdB+3], s[sgprScalarGlobalReadOffsetB+0], offen offset:0 // G -> Reg 1_0_0_0
v_mfma_f32_32x32x2f32 a[16+0:31+0], v[vgprValuA_X1_I0+1+0+0], v[vgprValuB_X1_I0+0+0+0], a[16:31]
/*  mfmaIndex:11  */
/* localReadsVacancy: latencyLeft 13 */
_buffer_load_b32 v[vgprG2LB+2], v[vgprGlobalReadOffsetB+0], s[sgprSrdB:sgprSrdB+3], s[sgprScalarGlobalReadOffsetB+1], offen offset:0 // G -> Reg 0_0_1_0
v_mfma_f32_32x32x2f32 a[32+0:47+0], v[vgprValuA_X1_I0+2+0+0], v[vgprValuB_X1_I0+0+0+0], a[32:47]
/*  mfmaIndex:12  */
/* localReadsVacancy: latencyLeft 13 */
_buffer_load_b32 v[vgprG2LB+3], v[vgprGlobalReadOffsetB+0], s[sgprSrdB:sgprSrdB+3], s[sgprScalarGlobalReadOffsetB+2], offen offset:0 // G -> Reg 1_0_1_0
v_mfma_f32_32x32x2f32 a[48+0:63+0], v[vgprValuA_X1_I0+3+0+0], v[vgprValuB_X1_I0+0+0+0], a[48:63]
/*  mfmaIndex:13  */
/* localReadsVacancy: latencyLeft 13 */

/* global read inc A loopL */
s_cmp_eq_u32 s[sgprLoopCounterL], s[sgprStaggerUIter] // Is this the wrapIter?
s_cselect_b32 s68, s[sgprWrapUA+0], s[sgprGlobalReadIncsA+0] // incLower <- ?
s_cselect_b32 s69, s[sgprWrapUA+1], 0              // incUpper <- ?
s_add_u32 s[sgprSrdA+0], s[sgprSrdA+0], s68        // gra SRD += inc(lower)
s_addc_u32  s[sgprSrdA+1], s[sgprSrdA+1], s69      // gra SRD += inc(upper)
s_sub_u32 s[sgprShadowLimitA+0], s[sgprShadowLimitA+0], s68 // limit -= inc)
s_subb_u32 s[sgprShadowLimitA+1], s[sgprShadowLimitA+1], s69 // limit -= inc)
v_mfma_f32_32x32x2f32 a[64+0:79+0], v[vgprValuA_X1_I0+4+0+0], v[vgprValuB_X1_I0+0+0+0], a[64:79]
/*  mfmaIndex:14  */
/* localReadsVacancy: latencyLeft 13 */
s_cmp_eq_u32 s[sgprShadowLimitA+1], 0              // are we within 2^32?
s_cselect_b32 s[sgprSrdA+2], s[sgprShadowLimitA+0], BufferLimitA // Move shadow to real if we are within 2^32

/* global read inc B loopL */
s_cmp_eq_u32 s[sgprLoopCounterL], s[sgprStaggerUIter] // Is this the wrapIter?
s_cselect_b32 s68, s[sgprWrapUB+0], s[sgprGlobalReadIncsB+0] // incLower <- ?
s_cselect_b32 s69, s[sgprWrapUB+1], 0              // incUpper <- ?
s_add_u32 s[sgprSrdB+0], s[sgprSrdB+0], s68        // gra SRD += inc(lower)
s_addc_u32  s[sgprSrdB+1], s[sgprSrdB+1], s69      // gra SRD += inc(upper)
v_mfma_f32_32x32x2f32 a[80+0:95+0], v[vgprValuA_X1_I0+5+0+0], v[vgprValuB_X1_I0+0+0+0], a[80:95]
/*  mfmaIndex:15  */
/* localReadsVacancy: latencyLeft 13 */
s_sub_u32 s[sgprShadowLimitB+0], s[sgprShadowLimitB+0], s68 // limit -= inc)
s_subb_u32 s[sgprShadowLimitB+1], s[sgprShadowLimitB+1], s69 // limit -= inc)
s_cmp_eq_u32 s[sgprShadowLimitB+1], 0              // are we within 2^32?
s_cselect_b32 s[sgprSrdB+2], s[sgprShadowLimitB+0], BufferLimitB // Move shadow to real if we are within 2^32
v_mfma_f32_32x32x2f32 a[96+0:111+0], v[vgprValuA_X1_I0+6+0+0], v[vgprValuB_X1_I0+0+0+0], a[96:111]
/*  mfmaIndex:16  */
/* localReadsVacancy: latencyLeft 13 */
v_mfma_f32_32x32x2f32 a[112+0:127+0], v[vgprValuA_X1_I0+7+0+0], v[vgprValuB_X1_I0+0+0+0], a[112:127]
/*  mfmaIndex:17  */
/* localReadsVacancy: latencyLeft 13 */
v_mfma_f32_32x32x2f32 a[128+0:143+0], v[vgprValuA_X1_I0+8+0+0], v[vgprValuB_X1_I0+0+0+0], a[128:143]
/* numPrefetchIter=0 */
/* dataAtIterA=0 numReadsIterA=2 skipReadsIterA=1 readsPerIterA=9 */
/* dataAtIterB=0 numReadsIterB=2 skipReadsIterB=1 readsPerIterB=1 */


/* iter 2 (reset local read pointers iteration)  (swap local read pointers iteration)  */

/*  grEndMfmaIndex:12, lwStartMfmaIndex:19, lwEndMfmaIndex:31  */
/*  numMfmaForLR:2, barrierMfmaIndex:33 */
/*  mfmaIndex:18  */
_ds_load_b32 v[vgprValuA_X1_I0+0], v[vgprLocalReadAddrA] offset:23296 // L -> Reg lro=1728 swapByteOffset=16384 ti=32 vIdx=0 rIdx=0 oIdx=0 buffer=1 iui=0
_ds_load_b32 v[vgprValuB_X1_I0+0], v[vgprLocalReadAddrB] offset:19456 // L -> Reg lro=768 swapByteOffset=16384 ti=128 vIdx=0 rIdx=0 oIdx=0 buffer=1 iui=0
_ds_load_b32 v[vgprValuA_X1_I0+1], v[vgprLocalReadAddrA] offset:23424 // L -> Reg lro=1728 swapByteOffset=16384 ti=32 vIdx=1 rIdx=0 oIdx=0 buffer=1 iui=0
_ds_load_b32 v[vgprValuA_X1_I0+2], v[vgprLocalReadAddrA] offset:23552 // L -> Reg lro=1728 swapByteOffset=16384 ti=32 vIdx=2 rIdx=0 oIdx=0 buffer=1 iui=0
	;; [unrolled: 1-line block ×4, first 2 shown]
s_waitcnt lgkmcnt(6)                               // lgkmcnt=0 vmcnt=-1wait for prior local read local write old=0, new=6 newLW=0 newLR=6
v_mfma_f32_32x32x2f32 a[0+0:15+0], v[vgprValuA_X0_I0+0+0+0], v[vgprValuB_X0_I0+0+0+0], a[0:15]
/*  mfmaIndex:19  */
_ds_load_b32 v[vgprValuA_X1_I0+5], v[vgprLocalReadAddrA] offset:23936 // L -> Reg lro=1728 swapByteOffset=16384 ti=32 vIdx=5 rIdx=0 oIdx=0 buffer=1 iui=0
_ds_load_b32 v[vgprValuA_X1_I0+6], v[vgprLocalReadAddrA] offset:24064 // L -> Reg lro=1728 swapByteOffset=16384 ti=32 vIdx=6 rIdx=0 oIdx=0 buffer=1 iui=0
	;; [unrolled: 1-line block ×4, first 2 shown]
/* localReadsVacancy: latencyLeft 1 */
/* sched write - iter 2 writesPerItem=1 */
s_waitcnt vmcnt(0)                                 // lgkmcnt=-1 vmcnt=0wait for global read before writing to local
_ds_store_b32 v[vgprLocalWriteAddrA], v[vgprG2LA+0] offset:0 // lwoA_0_0_0_0 = (0*LSCA) + (0*LSPA)(*MT0I+PAD) = 0
v_mfma_f32_32x32x2f32 a[16+0:31+0], v[vgprValuA_X0_I0+1+0+0], v[vgprValuB_X0_I0+0+0+0], a[16:31]
/*  mfmaIndex:20  */
/* localReadsVacancy: latencyLeft 9 */
/* sched write - iter 2 writesPerItem=1 */
s_waitcnt vmcnt(0)                                 // lgkmcnt=-1 vmcnt=0wait for global read before writing to local
_ds_store_b32 v[vgprLocalWriteAddrA], v[vgprG2LA+1] offset:128 // lwoA_1_0_0_0 = (1*LSCA) + (0*LSPA)(*MT0I+PAD) = 128
v_mfma_f32_32x32x2f32 a[32+0:47+0], v[vgprValuA_X0_I0+2+0+0], v[vgprValuB_X0_I0+0+0+0], a[32:47]
/*  mfmaIndex:21  */
/* localReadsVacancy: latencyLeft 9 */
/* sched write - iter 2 writesPerItem=1 */
s_waitcnt vmcnt(0)                                 // lgkmcnt=-1 vmcnt=0wait for global read before writing to local
_ds_store_b32 v[vgprLocalWriteAddrA], v[vgprG2LA+2] offset:256 // lwoA_2_0_0_0 = (2*LSCA) + (0*LSPA)(*MT0I+PAD) = 256
v_mfma_f32_32x32x2f32 a[48+0:63+0], v[vgprValuA_X0_I0+3+0+0], v[vgprValuB_X0_I0+0+0+0], a[48:63]
/*  mfmaIndex:22  */
/* localReadsVacancy: latencyLeft 9 */
/* sched write - iter 2 writesPerItem=1 */
s_waitcnt vmcnt(0)                                 // lgkmcnt=-1 vmcnt=0wait for global read before writing to local
_ds_store_b32 v[vgprLocalWriteAddrA], v[vgprG2LA+3] offset:384 // lwoA_3_0_0_0 = (3*LSCA) + (0*LSPA)(*MT0I+PAD) = 384
v_mfma_f32_32x32x2f32 a[64+0:79+0], v[vgprValuA_X0_I0+4+0+0], v[vgprValuB_X0_I0+0+0+0], a[64:79]
/*  mfmaIndex:23  */
/* localReadsVacancy: latencyLeft 9 */
/* sched write - iter 2 writesPerItem=1 */
s_waitcnt vmcnt(0)                                 // lgkmcnt=-1 vmcnt=0wait for global read before writing to local
_ds_store_b32 v[vgprLocalWriteAddrA], v[vgprG2LA+4] offset:512 // lwoA_4_0_0_0 = (4*LSCA) + (0*LSPA)(*MT0I+PAD) = 512
v_mfma_f32_32x32x2f32 a[80+0:95+0], v[vgprValuA_X0_I0+5+0+0], v[vgprValuB_X0_I0+0+0+0], a[80:95]
/*  mfmaIndex:24  */
/* localReadsVacancy: latencyLeft 9 */
/* sched write - iter 2 writesPerItem=1 */
s_waitcnt vmcnt(0)                                 // lgkmcnt=-1 vmcnt=0wait for global read before writing to local
_ds_store_b32 v[vgprLocalWriteAddrA], v[vgprG2LA+5] offset:640 // lwoA_5_0_0_0 = (5*LSCA) + (0*LSPA)(*MT0I+PAD) = 640
v_mfma_f32_32x32x2f32 a[96+0:111+0], v[vgprValuA_X0_I0+6+0+0], v[vgprValuB_X0_I0+0+0+0], a[96:111]
/*  mfmaIndex:25  */
/* localReadsVacancy: latencyLeft 9 */
/* sched write - iter 2 writesPerItem=1 */
s_waitcnt vmcnt(0)                                 // lgkmcnt=-1 vmcnt=0wait for global read before writing to local
_ds_store_b32 v[vgprLocalWriteAddrA], v[vgprG2LA+6] offset:768 // lwoA_6_0_0_0 = (6*LSCA) + (0*LSPA)(*MT0I+PAD) = 768
v_mfma_f32_32x32x2f32 a[112+0:127+0], v[vgprValuA_X0_I0+7+0+0], v[vgprValuB_X0_I0+0+0+0], a[112:127]
/*  mfmaIndex:26  */
/* localReadsVacancy: latencyLeft 9 */
/* sched write - iter 2 writesPerItem=1 */
s_waitcnt vmcnt(0)                                 // lgkmcnt=-1 vmcnt=0wait for global read before writing to local
_ds_store_b32 v[vgprLocalWriteAddrA], v[vgprG2LA+7] offset:896 // lwoA_7_0_0_0 = (7*LSCA) + (0*LSPA)(*MT0I+PAD) = 896

/* local read swap offsets a */

/* local read swap internal offset -> 0 */

/* local read swap offsets b */

/* local read swap internal offset -> 0 */

/* local read init pointers a */

/* localReadInitPointers */

/* local read init pointers b */

/* localReadInitPointers */
v_mfma_f32_32x32x2f32 a[128+0:143+0], v[vgprValuA_X0_I0+8+0+0], v[vgprValuB_X0_I0+0+0+0], a[128:143]
/* numPrefetchIter=0 */
/* dataAtIterA=1 numReadsIterA=3 skipReadsIterA=1 readsPerIterA=9 */
/* dataAtIterB=1 numReadsIterB=3 skipReadsIterB=1 readsPerIterB=1 */


/* iter 3 (swap and reset local write pointers iteration)  */

/*  grEndMfmaIndex:12, lwStartMfmaIndex:19, lwEndMfmaIndex:31  */
/*  numMfmaForLR:2, barrierMfmaIndex:33 */
/*  mfmaIndex:27  */
/* sched write - iter 3 writesPerItem=1 */
s_waitcnt vmcnt(0)                                 // lgkmcnt=-1 vmcnt=0wait for global read before writing to local
_ds_store_b32 v[vgprLocalWriteAddrA], v[vgprG2LA+8] offset:1024 // lwoA_8_0_0_0 = (8*LSCA) + (0*LSPA)(*MT0I+PAD) = 1024
s_waitcnt lgkmcnt(9)                               // lgkmcnt=0 vmcnt=-1wait for prior local read local write old=0, new=9 newLW=9 newLR=0
v_mfma_f32_32x32x2f32 a[0+0:15+0], v[vgprValuA_X1_I0+0+0+0], v[vgprValuB_X1_I0+0+0+0], a[0:15]
/*  mfmaIndex:28  */
/* sched write - iter 3 writesPerItem=1 */
s_waitcnt vmcnt(0)                                 // lgkmcnt=-1 vmcnt=0wait for global read before writing to local
_ds_store_b32 v[vgprLocalWriteAddrB], v[vgprG2LB+0] offset:0 // lwoB_0_0_0_0 = (0*LSCB) + (0*LSPB)(*MT1J+PAD) = 0
v_mfma_f32_32x32x2f32 a[16+0:31+0], v[vgprValuA_X1_I0+1+0+0], v[vgprValuB_X1_I0+0+0+0], a[16:31]
/*  mfmaIndex:29  */
/* sched write - iter 3 writesPerItem=1 */
s_waitcnt vmcnt(0)                                 // lgkmcnt=-1 vmcnt=0wait for global read before writing to local
_ds_store_b32 v[vgprLocalWriteAddrB], v[vgprG2LB+1] offset:256 // lwoB_1_0_0_0 = (1*LSCB) + (0*LSPB)(*MT1J+PAD) = 256
v_mfma_f32_32x32x2f32 a[32+0:47+0], v[vgprValuA_X1_I0+2+0+0], v[vgprValuB_X1_I0+0+0+0], a[32:47]
/*  mfmaIndex:30  */
/* sched write - iter 3 writesPerItem=1 */
s_waitcnt vmcnt(0)                                 // lgkmcnt=-1 vmcnt=0wait for global read before writing to local
_ds_store_b32 v[vgprLocalWriteAddrB], v[vgprG2LB+2] offset:512 // lwoB_0_0_1_0 = (0*LSCB) + (1*LSPB)(*MT1J+PAD) = 512
v_mfma_f32_32x32x2f32 a[48+0:63+0], v[vgprValuA_X1_I0+3+0+0], v[vgprValuB_X1_I0+0+0+0], a[48:63]
/*  mfmaIndex:31  */
/* sched write - iter 3 writesPerItem=1 */
s_waitcnt vmcnt(0)                                 // lgkmcnt=-1 vmcnt=0wait for global read before writing to local
_ds_store_b32 v[vgprLocalWriteAddrB], v[vgprG2LB+3] offset:768 // lwoB_1_0_1_0 = (1*LSCB) + (1*LSPB)(*MT1J+PAD) = 768

/* local write swap offsets a */

/* (EPS=1) local write swap internal offset -> 16384 */

/* local write swap offsets b */

/* (EPS=1) local write swap internal offset -> 16384 */
v_mfma_f32_32x32x2f32 a[64+0:79+0], v[vgprValuA_X1_I0+4+0+0], v[vgprValuB_X1_I0+0+0+0], a[64:79]
/*  mfmaIndex:32  */
v_mfma_f32_32x32x2f32 a[80+0:95+0], v[vgprValuA_X1_I0+5+0+0], v[vgprValuB_X1_I0+0+0+0], a[80:95]
/*  mfmaIndex:33  */
s_waitcnt lgkmcnt(0)                               // lgkmcnt=0 vmcnt=-13wait for local write
s_waitcnt lgkmcnt(0) & vmcnt(0)                    // force waitcnt0
s_barrier //
v_mfma_f32_32x32x2f32 a[96+0:111+0], v[vgprValuA_X1_I0+6+0+0], v[vgprValuB_X1_I0+0+0+0], a[96:111]
/*  mfmaIndex:34  */
_ds_load_b32 v[vgprValuA_X0_I0+0], v[vgprLocalReadAddrA] offset:0 // L -> Reg lro=0 swapByteOffset=0 ti=32 vIdx=0 rIdx=0 oIdx=0 buffer=0 iui=0
_ds_load_b32 v[vgprValuB_X0_I0+0], v[vgprLocalReadAddrB] offset:0 // L -> Reg lro=0 swapByteOffset=0 ti=128 vIdx=0 rIdx=0 oIdx=0 buffer=0 iui=0
_ds_load_b32 v[vgprValuA_X0_I0+1], v[vgprLocalReadAddrA] offset:128 // L -> Reg lro=0 swapByteOffset=0 ti=32 vIdx=1 rIdx=0 oIdx=0 buffer=0 iui=0
_ds_load_b32 v[vgprValuA_X0_I0+2], v[vgprLocalReadAddrA] offset:256 // L -> Reg lro=0 swapByteOffset=0 ti=32 vIdx=2 rIdx=0 oIdx=0 buffer=0 iui=0
	;; [unrolled: 1-line block ×4, first 2 shown]
v_mfma_f32_32x32x2f32 a[112+0:127+0], v[vgprValuA_X1_I0+7+0+0], v[vgprValuB_X1_I0+0+0+0], a[112:127]
/*  mfmaIndex:35  */
_ds_load_b32 v[vgprValuA_X0_I0+5], v[vgprLocalReadAddrA] offset:640 // L -> Reg lro=0 swapByteOffset=0 ti=32 vIdx=5 rIdx=0 oIdx=0 buffer=0 iui=0
_ds_load_b32 v[vgprValuA_X0_I0+6], v[vgprLocalReadAddrA] offset:768 // L -> Reg lro=0 swapByteOffset=0 ti=32 vIdx=6 rIdx=0 oIdx=0 buffer=0 iui=0
	;; [unrolled: 1-line block ×4, first 2 shown]
v_mfma_f32_32x32x2f32 a[128+0:143+0], v[vgprValuA_X1_I0+8+0+0], v[vgprValuB_X1_I0+0+0+0], a[128:143]
/* numPrefetchIter=1 */
/* dataAtIterA=2 numReadsIterA=3 skipReadsIterA=1 readsPerIterA=9 */
/* dataAtIterB=2 numReadsIterB=3 skipReadsIterB=1 readsPerIterB=1 */


/******************************************/
/* Unrolled Loop - End 2/2 (final)        */
/******************************************/


/* closeLoop loopL finalLoop=1 tailLoop=0 */
s_sub_u32 s[sgprLoopCounterL], s[sgprLoopCounterL], 1 // dec counterL
s_cmp_eq_i32 s[sgprLoopCounterL], 0x1              // counterL==1
s_cbranch_scc0 LoopBeginL_1                        // restart LoopL
LoopEndL_evenexit_4: // unroll loop eveniter exit
s_branch LoopEndL_2                                // exit unroll loopL (and skip second exit code)
LoopEndL_oddexit_3: // unroll loop odditer exit

/* Select high bank of LDS */
v_xor_b32 v[vgprLocalReadAddrA], 0x4000, v[vgprLocalReadAddrA] // swap Red Blk
v_xor_b32 v[vgprLocalReadAddrB], 0x4000, v[vgprLocalReadAddrB] // swap Red Blk
LoopEndL_2:


/* Before NLL: Check VGPR.checkin for INT8 LW */


/******************************************/
/* Opt. NoLoadLoop Without PAP - Begin                                      */
/******************************************/

s_cmpk_eq_u32 s[sgprBeta], 0x0                     // Beta == 0
s_cbranch_scc0 OptNLL_End_15                       // Branch if Beta is not zero

s_cmp_eq_u32 s[sgprAlpha], 1.0                     // Alpha == 1.0 ?
s_cbranch_scc0 OptNLL_End_15                       // branch if alpha != 1

s_mov_b32 s71, 0x0                                 // STATIC_DIV: divisior=288
s_mul_i32 s70, 0x1c7, s[sgprSizeI]                 // tmp1 = dividend * magic hi
s_lshl_b64 s[70:71], s[70:71], 0x10                // left shift 16 bits
s_mul_i32 s69, s[sgprSizeI], 0x1c72                // tmp0 = dividend * magic lo
s_add_u32 s70, s69, s70                            // add lo
s_addc_u32 s71, s71, 0x0                           // add hi
s_lshr_b64 s[70:71], s[70:71], 0x21                // tmp1 = (dividend * magic) << shift
s_mov_b32 s69, s70                                 // quotient
s_mul_i32 s70, s69, 0x120                          // quotient*divisor
s_sub_u32 s68, s[sgprSizeI], s70                   // rReg = dividend - quotient*divisor
s_add_u32 s69, -0x1, s[sgprNumWorkGroups0]         // 
s_cmp_ge_u32 s[sgprWorkGroup0], s69                // wg0 >= nwg0-1 ?
s_cselect_b32 s68, s68, 0                          // set rMT0
s_cmpk_gt_u32 s68, 0x0                             // rMT0 > 0
s_cbranch_scc1 OptNLL_End_15                       // jump if edges required
s_and_b32 s68, 127, s[sgprSizeJ]                   // s68 = s[sgprSizeJ] % 128
s_add_u32 s69, -0x1, s[sgprNumWorkGroups1]         // 
s_cmp_ge_u32 s[sgprWorkGroup1], s69                // wg1 >= nwg1-1
s_cselect_b32 s68, s68, 0                          // set rMT1
s_cmpk_gt_u32 s68, 0x0                             // rMT1 > 0
s_cbranch_scc1 OptNLL_End_15                       // jump if edges required


	;; [unrolled: 1-line block ×4, first 2 shown]
/* iter 0 (last unrolled loop) */

/*  grEndMfmaIndex:0, lwStartMfmaIndex:31, lwEndMfmaIndex:31  */
/*  numMfmaForLR:2, barrierMfmaIndex:33 */
/*  mfmaIndex:0  */
s_waitcnt lgkmcnt(0)                               // lgkmcnt=0 vmcnt=-1wait for prior local read local write old=0, new=0 newLW=0 newLR=0
v_mfma_f32_32x32x2f32 a[0+0:15+0], v[vgprValuA_X0_I0+0+0+0], v[vgprValuB_X0_I0+0+0+0], a[0:15]
/*  mfmaIndex:1  */
_ds_load_b32 v[vgprValuA_X1_I0+0], v[vgprLocalReadAddrA] offset:2304 // L -> Reg lro=576 swapByteOffset=0 ti=32 vIdx=0 rIdx=0 oIdx=0 buffer=1 iui=0
_ds_load_b32 v[vgprValuB_X1_I0+0], v[vgprLocalReadAddrB] offset:1024 // L -> Reg lro=256 swapByteOffset=0 ti=128 vIdx=0 rIdx=0 oIdx=0 buffer=1 iui=0
_ds_load_b32 v[vgprValuA_X1_I0+1], v[vgprLocalReadAddrA] offset:2432 // L -> Reg lro=576 swapByteOffset=0 ti=32 vIdx=1 rIdx=0 oIdx=0 buffer=1 iui=0
_ds_load_b32 v[vgprValuA_X1_I0+2], v[vgprLocalReadAddrA] offset:2560 // L -> Reg lro=576 swapByteOffset=0 ti=32 vIdx=2 rIdx=0 oIdx=0 buffer=1 iui=0
	;; [unrolled: 1-line block ×4, first 2 shown]
v_mfma_f32_32x32x2f32 a[16+0:31+0], v[vgprValuA_X0_I0+1+0+0], v[vgprValuB_X0_I0+0+0+0], a[16:31]
/*  mfmaIndex:2  */
_ds_load_b32 v[vgprValuA_X1_I0+5], v[vgprLocalReadAddrA] offset:2944 // L -> Reg lro=576 swapByteOffset=0 ti=32 vIdx=5 rIdx=0 oIdx=0 buffer=1 iui=0
_ds_load_b32 v[vgprValuA_X1_I0+6], v[vgprLocalReadAddrA] offset:3072 // L -> Reg lro=576 swapByteOffset=0 ti=32 vIdx=6 rIdx=0 oIdx=0 buffer=1 iui=0
	;; [unrolled: 1-line block ×4, first 2 shown]
/* localReadsVacancy: latencyLeft 5 */
v_mfma_f32_32x32x2f32 a[32+0:47+0], v[vgprValuA_X0_I0+2+0+0], v[vgprValuB_X0_I0+0+0+0], a[32:47]
/*  mfmaIndex:3  */
/* localReadsVacancy: latencyLeft 13 */
v_mfma_f32_32x32x2f32 a[48+0:63+0], v[vgprValuA_X0_I0+3+0+0], v[vgprValuB_X0_I0+0+0+0], a[48:63]
/*  mfmaIndex:4  */
	;; [unrolled: 3-line block ×6, first 2 shown]
/* localReadsVacancy: latencyLeft 13 */
v_mfma_f32_32x32x2f32 a[128+0:143+0], v[vgprValuA_X0_I0+8+0+0], v[vgprValuB_X0_I0+0+0+0], a[128:143]
/* numPrefetchIter=0 */
/* dataAtIterA=-1 numReadsIterA=1 skipReadsIterA=1 readsPerIterA=9 */
/* dataAtIterB=-1 numReadsIterB=1 skipReadsIterB=1 readsPerIterB=1 */


	;; [unrolled: 1-line block ×3, first 2 shown]
/* iter 1 (last unrolled loop) */

/*  grEndMfmaIndex:0, lwStartMfmaIndex:31, lwEndMfmaIndex:31  */
/*  numMfmaForLR:2, barrierMfmaIndex:33 */
/*  mfmaIndex:9  */
_ds_load_b32 v[vgprValuA_X0_I0+0], v[vgprLocalReadAddrA] offset:4608 // L -> Reg lro=1152 swapByteOffset=0 ti=32 vIdx=0 rIdx=0 oIdx=0 buffer=0 iui=0
_ds_load_b32 v[vgprValuB_X0_I0+0], v[vgprLocalReadAddrB] offset:2048 // L -> Reg lro=512 swapByteOffset=0 ti=128 vIdx=0 rIdx=0 oIdx=0 buffer=0 iui=0
_ds_load_b32 v[vgprValuA_X0_I0+1], v[vgprLocalReadAddrA] offset:4736 // L -> Reg lro=1152 swapByteOffset=0 ti=32 vIdx=1 rIdx=0 oIdx=0 buffer=0 iui=0
_ds_load_b32 v[vgprValuA_X0_I0+2], v[vgprLocalReadAddrA] offset:4864 // L -> Reg lro=1152 swapByteOffset=0 ti=32 vIdx=2 rIdx=0 oIdx=0 buffer=0 iui=0
	;; [unrolled: 1-line block ×4, first 2 shown]
s_waitcnt lgkmcnt(6)                               // lgkmcnt=0 vmcnt=-1wait for prior local read local write old=0, new=6 newLW=0 newLR=6
v_mfma_f32_32x32x2f32 a[0+0:15+0], v[vgprValuA_X1_I0+0+0+0], v[vgprValuB_X1_I0+0+0+0], a[0:15]
/*  mfmaIndex:10  */
_ds_load_b32 v[vgprValuA_X0_I0+5], v[vgprLocalReadAddrA] offset:5248 // L -> Reg lro=1152 swapByteOffset=0 ti=32 vIdx=5 rIdx=0 oIdx=0 buffer=0 iui=0
_ds_load_b32 v[vgprValuA_X0_I0+6], v[vgprLocalReadAddrA] offset:5376 // L -> Reg lro=1152 swapByteOffset=0 ti=32 vIdx=6 rIdx=0 oIdx=0 buffer=0 iui=0
	;; [unrolled: 1-line block ×4, first 2 shown]
/* localReadsVacancy: latencyLeft 5 */
v_mfma_f32_32x32x2f32 a[16+0:31+0], v[vgprValuA_X1_I0+1+0+0], v[vgprValuB_X1_I0+0+0+0], a[16:31]
/*  mfmaIndex:11  */
/* localReadsVacancy: latencyLeft 13 */
v_mfma_f32_32x32x2f32 a[32+0:47+0], v[vgprValuA_X1_I0+2+0+0], v[vgprValuB_X1_I0+0+0+0], a[32:47]
/*  mfmaIndex:12  */
	;; [unrolled: 3-line block ×7, first 2 shown]
/* localReadsVacancy: latencyLeft 13 */
v_mfma_f32_32x32x2f32 a[128+0:143+0], v[vgprValuA_X1_I0+8+0+0], v[vgprValuB_X1_I0+0+0+0], a[128:143]
/* numPrefetchIter=0 */
/* dataAtIterA=0 numReadsIterA=2 skipReadsIterA=1 readsPerIterA=9 */
/* dataAtIterB=0 numReadsIterB=2 skipReadsIterB=1 readsPerIterB=1 */



/* iter 2 (last unrolled loop) */

/*  grEndMfmaIndex:0, lwStartMfmaIndex:31, lwEndMfmaIndex:31  */
/*  numMfmaForLR:2, barrierMfmaIndex:33 */
/*  mfmaIndex:18  */
_ds_load_b32 v[vgprValuA_X1_I0+0], v[vgprLocalReadAddrA] offset:6912 // L -> Reg lro=1728 swapByteOffset=0 ti=32 vIdx=0 rIdx=0 oIdx=0 buffer=1 iui=0
_ds_load_b32 v[vgprValuB_X1_I0+0], v[vgprLocalReadAddrB] offset:3072 // L -> Reg lro=768 swapByteOffset=0 ti=128 vIdx=0 rIdx=0 oIdx=0 buffer=1 iui=0
_ds_load_b32 v[vgprValuA_X1_I0+1], v[vgprLocalReadAddrA] offset:7040 // L -> Reg lro=1728 swapByteOffset=0 ti=32 vIdx=1 rIdx=0 oIdx=0 buffer=1 iui=0
_ds_load_b32 v[vgprValuA_X1_I0+2], v[vgprLocalReadAddrA] offset:7168 // L -> Reg lro=1728 swapByteOffset=0 ti=32 vIdx=2 rIdx=0 oIdx=0 buffer=1 iui=0
	;; [unrolled: 1-line block ×4, first 2 shown]
s_waitcnt lgkmcnt(6)                               // lgkmcnt=0 vmcnt=-1wait for prior local read local write old=0, new=6 newLW=0 newLR=6
v_mfma_f32_32x32x2f32 a[0+0:15+0], v[vgprValuA_X0_I0+0+0+0], v[vgprValuB_X0_I0+0+0+0], a[0:15]
/*  mfmaIndex:19  */
_ds_load_b32 v[vgprValuA_X1_I0+5], v[vgprLocalReadAddrA] offset:7552 // L -> Reg lro=1728 swapByteOffset=0 ti=32 vIdx=5 rIdx=0 oIdx=0 buffer=1 iui=0
_ds_load_b32 v[vgprValuA_X1_I0+6], v[vgprLocalReadAddrA] offset:7680 // L -> Reg lro=1728 swapByteOffset=0 ti=32 vIdx=6 rIdx=0 oIdx=0 buffer=1 iui=0
	;; [unrolled: 1-line block ×4, first 2 shown]
/* localReadsVacancy: latencyLeft 5 */
v_mfma_f32_32x32x2f32 a[16+0:31+0], v[vgprValuA_X0_I0+1+0+0], v[vgprValuB_X0_I0+0+0+0], a[16:31]
/*  mfmaIndex:20  */
/* localReadsVacancy: latencyLeft 13 */
v_mfma_f32_32x32x2f32 a[32+0:47+0], v[vgprValuA_X0_I0+2+0+0], v[vgprValuB_X0_I0+0+0+0], a[32:47]
/*  mfmaIndex:21  */
	;; [unrolled: 3-line block ×7, first 2 shown]
/* localReadsVacancy: latencyLeft 13 */
v_mfma_f32_32x32x2f32 a[128+0:143+0], v[vgprValuA_X0_I0+8+0+0], v[vgprValuB_X0_I0+0+0+0], a[128:143]
/* numPrefetchIter=0 */
/* dataAtIterA=1 numReadsIterA=3 skipReadsIterA=1 readsPerIterA=9 */
/* dataAtIterB=1 numReadsIterB=3 skipReadsIterB=1 readsPerIterB=1 */


	;; [unrolled: 1-line block ×3, first 2 shown]
/* iter 3 (last unrolled loop) */

/*  grEndMfmaIndex:0, lwStartMfmaIndex:31, lwEndMfmaIndex:31  */
/*  numMfmaForLR:2, barrierMfmaIndex:33 */
/*  mfmaIndex:27  */
s_waitcnt lgkmcnt(0)                               // lgkmcnt=0 vmcnt=-1wait for prior local read local write old=0, new=0 newLW=0 newLR=0
v_mfma_f32_32x32x2f32 a[0+0:15+0], v[vgprValuA_X1_I0+0+0+0], v[vgprValuB_X1_I0+0+0+0], a[0:15]
/*  mfmaIndex:28  */
v_mfma_f32_32x32x2f32 a[16+0:31+0], v[vgprValuA_X1_I0+1+0+0], v[vgprValuB_X1_I0+0+0+0], a[16:31]
/*  mfmaIndex:29  */
	;; [unrolled: 2-line block ×8, first 2 shown]
v_mfma_f32_32x32x2f32 a[128+0:143+0], v[vgprValuA_X1_I0+8+0+0], v[vgprValuB_X1_I0+0+0+0], a[128:143]
/* numPrefetchIter=0 */
/* dataAtIterA=2 numReadsIterA=3 skipReadsIterA=0 readsPerIterA=9 */
/* dataAtIterB=2 numReadsIterB=3 skipReadsIterB=0 readsPerIterB=1 */

TailLoopEndL_OptNLL_17:

/* Stores for OptNLL */
Summation_End_OptNLL_20:
/* endSummation: add vgpr [0...38) to pool */
.set ScalarGlobalReadOffsetA, UNDEF
.set ScalarGlobalReadOffsetB, UNDEF

/* Mapping of Acc register -> C Vgpr register */
/* computeStoreVgprs */
v_lshrrev_b32 v4, 6, v[vgprSerial]                 // v4 = v[vgprSerial] / 64
v_lshrrev_b32 v1, 0, v4                            // v1 = v4 / 1
v_mul_lo_u32 v1, 0x20, v1                          // wave coordination offset 1
v_and_b32 v5, 31, v[vgprSerial]                    // v5 = v[vgprSerial] % 32
_v_add_lshl_u32 v1, v5, v1, 0                      // coordination 1 = vwb *(wave_id1 + tid1)
v_mul_lo_u32 v2, v1, s[sgprStrideC1J]              //  offset 1
v_mul_lo_u32 v3, v1, s[sgprStrideD1J]              //  offset 1
v_and_b32 v0, 63, v[vgprSerial]                    // v0 = v[vgprSerial] % 64
v_lshrrev_b32 v0, 5, v0                            // v0 = v0 / 32
v_lshlrev_b32 v0, 0x2, v0                          // thread0 * continuous_output
v_and_b32 v5, 0, v4                                // v5 = v4 % 1
v_mul_lo_u32 v5, 0x20, v5                          // wave coordination offset 0
_v_add_lshl_u32 v0, v5, v0, 0                      // coordination 0 = vwa *(wave_id0 + tid0)
s_mul_i32 s53, 288, s[sgprWorkGroup0]              // wgp0 * MT0
_v_add_u32 v0, s53, v0                             // coord 0 = (tid0/MI_m)*4 + waveG0*MIB_m + MT0*SG0
s_mul_i32 s53, 128, s[sgprWorkGroup1]              // wgp1 * MT1
_v_add_u32 v1, s53, v1                             // coord 1 = (tid0%MI_m) + waveG1*MIB_n + MT1*SG1
GW_B0_E0_23:

/* edge=0, allocate 2 sgpr. perBatchTmpS=2 perBatchMaskS=0 perElementMaskS=0 elementsPerBatch=60 */
/* optSingleColVgpr=1 optSharedColVgpr=0 optSGPRUsage=BufferLoad_Mask optSrdIncForRow=1 */

/******************************************/
/* Global Write Batch #0 (d1,d0,vc1,vc0) = */
/*    (0,0,0,0:vw4); (0,1,0,0:vw4); (0,2,0,0:vw4); (0,3,0,0:vw4); (0,4,0,0:vw4); (0,5,0,0:vw4); (0,6,0,0:vw4); (0,7,0,0:vw4); (0,8,0,0:vw4); (0,9,0,0:vw4); (0,10,0,0:vw4); (0,11,0,0:vw4); (0,12,0,0:vw4); (0,13,0,0:vw4); (0,14,0,0:vw4); (0,15,0,0:vw4); (0,16,0,0:vw4); (0,17,0,0:vw4); (0,18,0,0:vw4); (0,19,0,0:vw4); (0,20,0,0:vw4); (0,21,0,0:vw4); (0,22,0,0:vw4); (0,23,0,0:vw4); (0,24,0,0:vw4); (0,25,0,0:vw4); (0,26,0,0:vw4); (0,27,0,0:vw4); (0,28,0,0:vw4); (0,29,0,0:vw4); (0,30,0,0:vw4); (0,31,0,0:vw4); (0,32,0,0:vw4); (0,33,0,0:vw4); (0,34,0,0:vw4); (0,35,0,0:vw4) */
/******************************************/

/* calc coords, apply mask, and issue loads (if necessary) */
/* (d1,vc1,d0,vc0)=(0,0,0,0) */
/* (d1,vc1,d0,vc0)=(0,0,1,0) */
	;; [unrolled: 1-line block ×36, first 2 shown]
_v_add_lshl_u32 v6, v3, v0, 0x2                    // optSingleColVgpr scaleToBpe: sharedAddrVgpr <- cinRowPtr + coord0, scaled by BPE. BSHERE:coord0=0, coord0Vgpr=0
v_accvgpr_read_b32 v[vgprValuC+8], acc0 // copy acc to vreg[0]
v_accvgpr_read_b32 v[vgprValuC+9], acc1 // copy acc to vreg[1]
v_accvgpr_read_b32 v[vgprValuC+10], acc2 // copy acc to vreg[2]
v_accvgpr_read_b32 v[vgprValuC+11], acc3 // copy acc to vreg[3]
v_accvgpr_read_b32 v[vgprValuC+12], acc4 // copy acc to vreg[4]
v_accvgpr_read_b32 v[vgprValuC+13], acc5 // copy acc to vreg[5]
v_accvgpr_read_b32 v[vgprValuC+14], acc6 // copy acc to vreg[6]
v_accvgpr_read_b32 v[vgprValuC+15], acc7 // copy acc to vreg[7]
v_accvgpr_read_b32 v[vgprValuC+16], acc8 // copy acc to vreg[8]
v_accvgpr_read_b32 v[vgprValuC+17], acc9 // copy acc to vreg[9]
v_accvgpr_read_b32 v[vgprValuC+18], acc10 // copy acc to vreg[10]
v_accvgpr_read_b32 v[vgprValuC+19], acc11 // copy acc to vreg[11]
v_accvgpr_read_b32 v[vgprValuC+20], acc12 // copy acc to vreg[12]
v_accvgpr_read_b32 v[vgprValuC+21], acc13 // copy acc to vreg[13]
v_accvgpr_read_b32 v[vgprValuC+22], acc14 // copy acc to vreg[14]
v_accvgpr_read_b32 v[vgprValuC+23], acc15 // copy acc to vreg[15]
v_accvgpr_read_b32 v[vgprValuC+24], acc16 // copy acc to vreg[16]
v_accvgpr_read_b32 v[vgprValuC+25], acc17 // copy acc to vreg[17]
v_accvgpr_read_b32 v[vgprValuC+26], acc18 // copy acc to vreg[18]
v_accvgpr_read_b32 v[vgprValuC+27], acc19 // copy acc to vreg[19]
v_accvgpr_read_b32 v[vgprValuC+28], acc20 // copy acc to vreg[20]
v_accvgpr_read_b32 v[vgprValuC+29], acc21 // copy acc to vreg[21]
v_accvgpr_read_b32 v[vgprValuC+30], acc22 // copy acc to vreg[22]
v_accvgpr_read_b32 v[vgprValuC+31], acc23 // copy acc to vreg[23]
v_accvgpr_read_b32 v[vgprValuC+32], acc24 // copy acc to vreg[24]
v_accvgpr_read_b32 v[vgprValuC+33], acc25 // copy acc to vreg[25]
v_accvgpr_read_b32 v[vgprValuC+34], acc26 // copy acc to vreg[26]
v_accvgpr_read_b32 v[vgprValuC+35], acc27 // copy acc to vreg[27]
v_accvgpr_read_b32 v[vgprValuC+44], acc28 // copy acc to vreg[28]
v_accvgpr_read_b32 v[vgprValuC+45], acc29 // copy acc to vreg[29]
v_accvgpr_read_b32 v[vgprValuC+46], acc30 // copy acc to vreg[30]
v_accvgpr_read_b32 v[vgprValuC+47], acc31 // copy acc to vreg[31]
v_accvgpr_read_b32 v[vgprValuC+48], acc32 // copy acc to vreg[32]
v_accvgpr_read_b32 v[vgprValuC+49], acc33 // copy acc to vreg[33]
v_accvgpr_read_b32 v[vgprValuC+50], acc34 // copy acc to vreg[34]
v_accvgpr_read_b32 v[vgprValuC+51], acc35 // copy acc to vreg[35]
v_accvgpr_read_b32 v[vgprValuC+52], acc36 // copy acc to vreg[36]
v_accvgpr_read_b32 v[vgprValuC+53], acc37 // copy acc to vreg[37]
v_accvgpr_read_b32 v[vgprValuC+54], acc38 // copy acc to vreg[38]
v_accvgpr_read_b32 v[vgprValuC+55], acc39 // copy acc to vreg[39]
v_accvgpr_read_b32 v[vgprValuC+56], acc40 // copy acc to vreg[40]
v_accvgpr_read_b32 v[vgprValuC+57], acc41 // copy acc to vreg[41]
v_accvgpr_read_b32 v[vgprValuC+58], acc42 // copy acc to vreg[42]
v_accvgpr_read_b32 v[vgprValuC+59], acc43 // copy acc to vreg[43]
v_accvgpr_read_b32 v[vgprValuC+60], acc44 // copy acc to vreg[44]
v_accvgpr_read_b32 v[vgprValuC+61], acc45 // copy acc to vreg[45]
v_accvgpr_read_b32 v[vgprValuC+62], acc46 // copy acc to vreg[46]
v_accvgpr_read_b32 v[vgprValuC+63], acc47 // copy acc to vreg[47]
v_accvgpr_read_b32 v[vgprValuC+64], acc48 // copy acc to vreg[48]
v_accvgpr_read_b32 v[vgprValuC+65], acc49 // copy acc to vreg[49]
v_accvgpr_read_b32 v[vgprValuC+66], acc50 // copy acc to vreg[50]
v_accvgpr_read_b32 v[vgprValuC+67], acc51 // copy acc to vreg[51]
v_accvgpr_read_b32 v[vgprValuC+68], acc52 // copy acc to vreg[52]
v_accvgpr_read_b32 v[vgprValuC+69], acc53 // copy acc to vreg[53]
v_accvgpr_read_b32 v[vgprValuC+70], acc54 // copy acc to vreg[54]
v_accvgpr_read_b32 v[vgprValuC+71], acc55 // copy acc to vreg[55]
v_accvgpr_read_b32 v[vgprValuC+72], acc56 // copy acc to vreg[56]
v_accvgpr_read_b32 v[vgprValuC+73], acc57 // copy acc to vreg[57]
v_accvgpr_read_b32 v[vgprValuC+74], acc58 // copy acc to vreg[58]
v_accvgpr_read_b32 v[vgprValuC+75], acc59 // copy acc to vreg[59]
v_accvgpr_read_b32 v[vgprValuC+76], acc60 // copy acc to vreg[60]
v_accvgpr_read_b32 v[vgprValuC+77], acc61 // copy acc to vreg[61]
v_accvgpr_read_b32 v[vgprValuC+78], acc62 // copy acc to vreg[62]
v_accvgpr_read_b32 v[vgprValuC+79], acc63 // copy acc to vreg[63]
v_accvgpr_read_b32 v[vgprValuC+80], acc64 // copy acc to vreg[64]
v_accvgpr_read_b32 v[vgprValuC+81], acc65 // copy acc to vreg[65]
v_accvgpr_read_b32 v[vgprValuC+82], acc66 // copy acc to vreg[66]
v_accvgpr_read_b32 v[vgprValuC+83], acc67 // copy acc to vreg[67]
v_accvgpr_read_b32 v[vgprValuC+84], acc68 // copy acc to vreg[68]
v_accvgpr_read_b32 v[vgprValuC+85], acc69 // copy acc to vreg[69]
v_accvgpr_read_b32 v[vgprValuC+86], acc70 // copy acc to vreg[70]
v_accvgpr_read_b32 v[vgprValuC+87], acc71 // copy acc to vreg[71]
v_accvgpr_read_b32 v[vgprValuC+88], acc72 // copy acc to vreg[72]
v_accvgpr_read_b32 v[vgprValuC+89], acc73 // copy acc to vreg[73]
v_accvgpr_read_b32 v[vgprValuC+90], acc74 // copy acc to vreg[74]
v_accvgpr_read_b32 v[vgprValuC+91], acc75 // copy acc to vreg[75]
v_accvgpr_read_b32 v[vgprValuC+92], acc76 // copy acc to vreg[76]
v_accvgpr_read_b32 v[vgprValuC+93], acc77 // copy acc to vreg[77]
v_accvgpr_read_b32 v[vgprValuC+94], acc78 // copy acc to vreg[78]
v_accvgpr_read_b32 v[vgprValuC+95], acc79 // copy acc to vreg[79]
v_accvgpr_read_b32 v[vgprValuC+96], acc80 // copy acc to vreg[80]
v_accvgpr_read_b32 v[vgprValuC+97], acc81 // copy acc to vreg[81]
v_accvgpr_read_b32 v[vgprValuC+98], acc82 // copy acc to vreg[82]
v_accvgpr_read_b32 v[vgprValuC+99], acc83 // copy acc to vreg[83]
v_accvgpr_read_b32 v[vgprValuC+100], acc84 // copy acc to vreg[84]
v_accvgpr_read_b32 v[vgprValuC+101], acc85 // copy acc to vreg[85]
v_accvgpr_read_b32 v[vgprValuC+102], acc86 // copy acc to vreg[86]
v_accvgpr_read_b32 v[vgprValuC+103], acc87 // copy acc to vreg[87]
v_accvgpr_read_b32 v[vgprValuC+104], acc88 // copy acc to vreg[88]
v_accvgpr_read_b32 v[vgprValuC+105], acc89 // copy acc to vreg[89]
v_accvgpr_read_b32 v[vgprValuC+106], acc90 // copy acc to vreg[90]
v_accvgpr_read_b32 v[vgprValuC+107], acc91 // copy acc to vreg[91]
v_accvgpr_read_b32 v[vgprValuC+108], acc92 // copy acc to vreg[92]
v_accvgpr_read_b32 v[vgprValuC+109], acc93 // copy acc to vreg[93]
v_accvgpr_read_b32 v[vgprValuC+110], acc94 // copy acc to vreg[94]
v_accvgpr_read_b32 v[vgprValuC+111], acc95 // copy acc to vreg[95]
v_accvgpr_read_b32 v[vgprValuC+112], acc96 // copy acc to vreg[96]
v_accvgpr_read_b32 v[vgprValuC+113], acc97 // copy acc to vreg[97]
v_accvgpr_read_b32 v[vgprValuC+114], acc98 // copy acc to vreg[98]
v_accvgpr_read_b32 v[vgprValuC+115], acc99 // copy acc to vreg[99]
v_accvgpr_read_b32 v[vgprValuC+116], acc100 // copy acc to vreg[100]
v_accvgpr_read_b32 v[vgprValuC+117], acc101 // copy acc to vreg[101]
v_accvgpr_read_b32 v[vgprValuC+118], acc102 // copy acc to vreg[102]
v_accvgpr_read_b32 v[vgprValuC+119], acc103 // copy acc to vreg[103]
v_accvgpr_read_b32 v[vgprValuC+120], acc104 // copy acc to vreg[104]
v_accvgpr_read_b32 v[vgprValuC+121], acc105 // copy acc to vreg[105]
v_accvgpr_read_b32 v[vgprValuC+122], acc106 // copy acc to vreg[106]
v_accvgpr_read_b32 v[vgprValuC+123], acc107 // copy acc to vreg[107]
v_accvgpr_read_b32 v[vgprValuC+124], acc108 // copy acc to vreg[108]
v_accvgpr_read_b32 v[vgprValuC+125], acc109 // copy acc to vreg[109]
v_accvgpr_read_b32 v[vgprValuC+126], acc110 // copy acc to vreg[110]
v_accvgpr_read_b32 v[vgprValuC+127], acc111 // copy acc to vreg[111]
v_accvgpr_read_b32 v[vgprValuC+128], acc112 // copy acc to vreg[112]
v_accvgpr_read_b32 v[vgprValuC+129], acc113 // copy acc to vreg[113]
v_accvgpr_read_b32 v[vgprValuC+130], acc114 // copy acc to vreg[114]
v_accvgpr_read_b32 v[vgprValuC+131], acc115 // copy acc to vreg[115]
v_accvgpr_read_b32 v[vgprValuC+132], acc116 // copy acc to vreg[116]
v_accvgpr_read_b32 v[vgprValuC+133], acc117 // copy acc to vreg[117]
v_accvgpr_read_b32 v[vgprValuC+134], acc118 // copy acc to vreg[118]
v_accvgpr_read_b32 v[vgprValuC+135], acc119 // copy acc to vreg[119]
v_accvgpr_read_b32 v[vgprValuC+136], acc120 // copy acc to vreg[120]
v_accvgpr_read_b32 v[vgprValuC+137], acc121 // copy acc to vreg[121]
v_accvgpr_read_b32 v[vgprValuC+138], acc122 // copy acc to vreg[122]
v_accvgpr_read_b32 v[vgprValuC+139], acc123 // copy acc to vreg[123]
v_accvgpr_read_b32 v[vgprValuC+140], acc124 // copy acc to vreg[124]
v_accvgpr_read_b32 v[vgprValuC+141], acc125 // copy acc to vreg[125]
v_accvgpr_read_b32 v[vgprValuC+142], acc126 // copy acc to vreg[126]
v_accvgpr_read_b32 v[vgprValuC+143], acc127 // copy acc to vreg[127]
v_accvgpr_read_b32 v[vgprValuC+144], acc128 // copy acc to vreg[128]
v_accvgpr_read_b32 v[vgprValuC+145], acc129 // copy acc to vreg[129]
v_accvgpr_read_b32 v[vgprValuC+146], acc130 // copy acc to vreg[130]
v_accvgpr_read_b32 v[vgprValuC+147], acc131 // copy acc to vreg[131]
v_accvgpr_read_b32 v[vgprValuC+148], acc132 // copy acc to vreg[132]
v_accvgpr_read_b32 v[vgprValuC+149], acc133 // copy acc to vreg[133]
v_accvgpr_read_b32 v[vgprValuC+150], acc134 // copy acc to vreg[134]
v_accvgpr_read_b32 v[vgprValuC+151], acc135 // copy acc to vreg[135]
v_accvgpr_read_b32 v[vgprValuC+152], acc136 // copy acc to vreg[136]
v_accvgpr_read_b32 v[vgprValuC+153], acc137 // copy acc to vreg[137]
v_accvgpr_read_b32 v[vgprValuC+154], acc138 // copy acc to vreg[138]
v_accvgpr_read_b32 v[vgprValuC+155], acc139 // copy acc to vreg[139]
v_accvgpr_read_b32 v[vgprValuC+156], acc140 // copy acc to vreg[140]
v_accvgpr_read_b32 v[vgprValuC+157], acc141 // copy acc to vreg[141]
v_accvgpr_read_b32 v[vgprValuC+158], acc142 // copy acc to vreg[142]
v_accvgpr_read_b32 v[vgprValuC+159], acc143 // copy acc to vreg[143]
s_nop 1                                            // 2 wait states required before reading vgpr

/* apply mask, calc new C and issue writes */
_buffer_store_b128 v[8:11], v6, s[sgprSrdD:sgprSrdD+3], 0, offen, offset:0 // store D
_buffer_store_b128 v[12:15], v6, s[sgprSrdD:sgprSrdD+3], 0, offen, offset:32 // store D
_buffer_store_b128 v[16:19], v6, s[sgprSrdD:sgprSrdD+3], 0, offen, offset:64 // store D
_buffer_store_b128 v[20:23], v6, s[sgprSrdD:sgprSrdD+3], 0, offen, offset:96 // store D
_buffer_store_b128 v[24:27], v6, s[sgprSrdD:sgprSrdD+3], 0, offen, offset:128 // store D
_buffer_store_b128 v[28:31], v6, s[sgprSrdD:sgprSrdD+3], 0, offen, offset:160 // store D
_buffer_store_b128 v[32:35], v6, s[sgprSrdD:sgprSrdD+3], 0, offen, offset:192 // store D
_buffer_store_b128 v[44:47], v6, s[sgprSrdD:sgprSrdD+3], 0, offen, offset:224 // store D
_buffer_store_b128 v[48:51], v6, s[sgprSrdD:sgprSrdD+3], 0, offen, offset:256 // store D
_buffer_store_b128 v[52:55], v6, s[sgprSrdD:sgprSrdD+3], 0, offen, offset:288 // store D
_buffer_store_b128 v[56:59], v6, s[sgprSrdD:sgprSrdD+3], 0, offen, offset:320 // store D
_buffer_store_b128 v[60:63], v6, s[sgprSrdD:sgprSrdD+3], 0, offen, offset:352 // store D
_buffer_store_b128 v[64:67], v6, s[sgprSrdD:sgprSrdD+3], 0, offen, offset:384 // store D
_buffer_store_b128 v[68:71], v6, s[sgprSrdD:sgprSrdD+3], 0, offen, offset:416 // store D
_buffer_store_b128 v[72:75], v6, s[sgprSrdD:sgprSrdD+3], 0, offen, offset:448 // store D
_buffer_store_b128 v[76:79], v6, s[sgprSrdD:sgprSrdD+3], 0, offen, offset:480 // store D
_buffer_store_b128 v[80:83], v6, s[sgprSrdD:sgprSrdD+3], 0, offen, offset:512 // store D
_buffer_store_b128 v[84:87], v6, s[sgprSrdD:sgprSrdD+3], 0, offen, offset:544 // store D
_buffer_store_b128 v[88:91], v6, s[sgprSrdD:sgprSrdD+3], 0, offen, offset:576 // store D
_buffer_store_b128 v[92:95], v6, s[sgprSrdD:sgprSrdD+3], 0, offen, offset:608 // store D
_buffer_store_b128 v[96:99], v6, s[sgprSrdD:sgprSrdD+3], 0, offen, offset:640 // store D
_buffer_store_b128 v[100:103], v6, s[sgprSrdD:sgprSrdD+3], 0, offen, offset:672 // store D
_buffer_store_b128 v[104:107], v6, s[sgprSrdD:sgprSrdD+3], 0, offen, offset:704 // store D
_buffer_store_b128 v[108:111], v6, s[sgprSrdD:sgprSrdD+3], 0, offen, offset:736 // store D
_buffer_store_b128 v[112:115], v6, s[sgprSrdD:sgprSrdD+3], 0, offen, offset:768 // store D
_buffer_store_b128 v[116:119], v6, s[sgprSrdD:sgprSrdD+3], 0, offen, offset:800 // store D
_buffer_store_b128 v[120:123], v6, s[sgprSrdD:sgprSrdD+3], 0, offen, offset:832 // store D
_buffer_store_b128 v[124:127], v6, s[sgprSrdD:sgprSrdD+3], 0, offen, offset:864 // store D
_buffer_store_b128 v[128:131], v6, s[sgprSrdD:sgprSrdD+3], 0, offen, offset:896 // store D
_buffer_store_b128 v[132:135], v6, s[sgprSrdD:sgprSrdD+3], 0, offen, offset:928 // store D
_buffer_store_b128 v[136:139], v6, s[sgprSrdD:sgprSrdD+3], 0, offen, offset:960 // store D
_buffer_store_b128 v[140:143], v6, s[sgprSrdD:sgprSrdD+3], 0, offen, offset:992 // store D
_buffer_store_b128 v[144:147], v6, s[sgprSrdD:sgprSrdD+3], 0, offen, offset:1024 // store D
_buffer_store_b128 v[148:151], v6, s[sgprSrdD:sgprSrdD+3], 0, offen, offset:1056 // store D
_buffer_store_b128 v[152:155], v6, s[sgprSrdD:sgprSrdD+3], 0, offen, offset:1088 // store D
_buffer_store_b128 v[156:159], v6, s[sgprSrdD:sgprSrdD+3], 0, offen, offset:1120 // store D
s_nop 0                                            // 1 wait state required when next inst writes vgprs held by previous dwordx4 store inst
s_branch label_GW_End_25                           // jump to end
label_GW_End_25:

s_endpgm                                           // Kernel End
OptNLL_End_15:


/******************************************/
/* Ord. NoLoadLoop - Begin                                      */
/******************************************/


	;; [unrolled: 1-line block ×4, first 2 shown]
/* iter 0 (last unrolled loop) */

/*  grEndMfmaIndex:0, lwStartMfmaIndex:31, lwEndMfmaIndex:31  */
/*  numMfmaForLR:2, barrierMfmaIndex:33 */
/*  mfmaIndex:0  */
s_waitcnt lgkmcnt(0)                               // lgkmcnt=0 vmcnt=-1wait for prior local read local write old=0, new=0 newLW=0 newLR=0
v_mfma_f32_32x32x2f32 a[0+0:15+0], v[vgprValuA_X0_I0+0+0+0], v[vgprValuB_X0_I0+0+0+0], a[0:15]
/*  mfmaIndex:1  */
_ds_load_b32 v[vgprValuA_X1_I0+0], v[vgprLocalReadAddrA] offset:2304 // L -> Reg lro=576 swapByteOffset=0 ti=32 vIdx=0 rIdx=0 oIdx=0 buffer=1 iui=0
_ds_load_b32 v[vgprValuB_X1_I0+0], v[vgprLocalReadAddrB] offset:1024 // L -> Reg lro=256 swapByteOffset=0 ti=128 vIdx=0 rIdx=0 oIdx=0 buffer=1 iui=0
_ds_load_b32 v[vgprValuA_X1_I0+1], v[vgprLocalReadAddrA] offset:2432 // L -> Reg lro=576 swapByteOffset=0 ti=32 vIdx=1 rIdx=0 oIdx=0 buffer=1 iui=0
_ds_load_b32 v[vgprValuA_X1_I0+2], v[vgprLocalReadAddrA] offset:2560 // L -> Reg lro=576 swapByteOffset=0 ti=32 vIdx=2 rIdx=0 oIdx=0 buffer=1 iui=0
_ds_load_b32 v[vgprValuA_X1_I0+3], v[vgprLocalReadAddrA] offset:2688 // L -> Reg lro=576 swapByteOffset=0 ti=32 vIdx=3 rIdx=0 oIdx=0 buffer=1 iui=0
_ds_load_b32 v[vgprValuA_X1_I0+4], v[vgprLocalReadAddrA] offset:2816 // L -> Reg lro=576 swapByteOffset=0 ti=32 vIdx=4 rIdx=0 oIdx=0 buffer=1 iui=0
v_mfma_f32_32x32x2f32 a[16+0:31+0], v[vgprValuA_X0_I0+1+0+0], v[vgprValuB_X0_I0+0+0+0], a[16:31]
/*  mfmaIndex:2  */
_ds_load_b32 v[vgprValuA_X1_I0+5], v[vgprLocalReadAddrA] offset:2944 // L -> Reg lro=576 swapByteOffset=0 ti=32 vIdx=5 rIdx=0 oIdx=0 buffer=1 iui=0
_ds_load_b32 v[vgprValuA_X1_I0+6], v[vgprLocalReadAddrA] offset:3072 // L -> Reg lro=576 swapByteOffset=0 ti=32 vIdx=6 rIdx=0 oIdx=0 buffer=1 iui=0
_ds_load_b32 v[vgprValuA_X1_I0+7], v[vgprLocalReadAddrA] offset:3200 // L -> Reg lro=576 swapByteOffset=0 ti=32 vIdx=7 rIdx=0 oIdx=0 buffer=1 iui=0
_ds_load_b32 v[vgprValuA_X1_I0+8], v[vgprLocalReadAddrA] offset:3328 // L -> Reg lro=576 swapByteOffset=0 ti=32 vIdx=8 rIdx=0 oIdx=0 buffer=1 iui=0
/* localReadsVacancy: latencyLeft 5 */
v_mfma_f32_32x32x2f32 a[32+0:47+0], v[vgprValuA_X0_I0+2+0+0], v[vgprValuB_X0_I0+0+0+0], a[32:47]
/*  mfmaIndex:3  */
/* localReadsVacancy: latencyLeft 13 */
v_mfma_f32_32x32x2f32 a[48+0:63+0], v[vgprValuA_X0_I0+3+0+0], v[vgprValuB_X0_I0+0+0+0], a[48:63]
/*  mfmaIndex:4  */
	;; [unrolled: 3-line block ×6, first 2 shown]
/* localReadsVacancy: latencyLeft 13 */
v_mfma_f32_32x32x2f32 a[128+0:143+0], v[vgprValuA_X0_I0+8+0+0], v[vgprValuB_X0_I0+0+0+0], a[128:143]
/* numPrefetchIter=0 */
/* dataAtIterA=-1 numReadsIterA=1 skipReadsIterA=1 readsPerIterA=9 */
/* dataAtIterB=-1 numReadsIterB=1 skipReadsIterB=1 readsPerIterB=1 */


	;; [unrolled: 1-line block ×3, first 2 shown]
/* iter 1 (last unrolled loop) */

/*  grEndMfmaIndex:0, lwStartMfmaIndex:31, lwEndMfmaIndex:31  */
/*  numMfmaForLR:2, barrierMfmaIndex:33 */
/*  mfmaIndex:9  */
_ds_load_b32 v[vgprValuA_X0_I0+0], v[vgprLocalReadAddrA] offset:4608 // L -> Reg lro=1152 swapByteOffset=0 ti=32 vIdx=0 rIdx=0 oIdx=0 buffer=0 iui=0
_ds_load_b32 v[vgprValuB_X0_I0+0], v[vgprLocalReadAddrB] offset:2048 // L -> Reg lro=512 swapByteOffset=0 ti=128 vIdx=0 rIdx=0 oIdx=0 buffer=0 iui=0
_ds_load_b32 v[vgprValuA_X0_I0+1], v[vgprLocalReadAddrA] offset:4736 // L -> Reg lro=1152 swapByteOffset=0 ti=32 vIdx=1 rIdx=0 oIdx=0 buffer=0 iui=0
_ds_load_b32 v[vgprValuA_X0_I0+2], v[vgprLocalReadAddrA] offset:4864 // L -> Reg lro=1152 swapByteOffset=0 ti=32 vIdx=2 rIdx=0 oIdx=0 buffer=0 iui=0
	;; [unrolled: 1-line block ×4, first 2 shown]
s_waitcnt lgkmcnt(6)                               // lgkmcnt=0 vmcnt=-1wait for prior local read local write old=0, new=6 newLW=0 newLR=6
v_mfma_f32_32x32x2f32 a[0+0:15+0], v[vgprValuA_X1_I0+0+0+0], v[vgprValuB_X1_I0+0+0+0], a[0:15]
/*  mfmaIndex:10  */
_ds_load_b32 v[vgprValuA_X0_I0+5], v[vgprLocalReadAddrA] offset:5248 // L -> Reg lro=1152 swapByteOffset=0 ti=32 vIdx=5 rIdx=0 oIdx=0 buffer=0 iui=0
_ds_load_b32 v[vgprValuA_X0_I0+6], v[vgprLocalReadAddrA] offset:5376 // L -> Reg lro=1152 swapByteOffset=0 ti=32 vIdx=6 rIdx=0 oIdx=0 buffer=0 iui=0
	;; [unrolled: 1-line block ×4, first 2 shown]
/* localReadsVacancy: latencyLeft 5 */
v_mfma_f32_32x32x2f32 a[16+0:31+0], v[vgprValuA_X1_I0+1+0+0], v[vgprValuB_X1_I0+0+0+0], a[16:31]
/*  mfmaIndex:11  */
/* localReadsVacancy: latencyLeft 13 */
v_mfma_f32_32x32x2f32 a[32+0:47+0], v[vgprValuA_X1_I0+2+0+0], v[vgprValuB_X1_I0+0+0+0], a[32:47]
/*  mfmaIndex:12  */
	;; [unrolled: 3-line block ×7, first 2 shown]
/* localReadsVacancy: latencyLeft 13 */
v_mfma_f32_32x32x2f32 a[128+0:143+0], v[vgprValuA_X1_I0+8+0+0], v[vgprValuB_X1_I0+0+0+0], a[128:143]
/* numPrefetchIter=0 */
/* dataAtIterA=0 numReadsIterA=2 skipReadsIterA=1 readsPerIterA=9 */
/* dataAtIterB=0 numReadsIterB=2 skipReadsIterB=1 readsPerIterB=1 */



/* iter 2 (last unrolled loop) */

/*  grEndMfmaIndex:0, lwStartMfmaIndex:31, lwEndMfmaIndex:31  */
/*  numMfmaForLR:2, barrierMfmaIndex:33 */
/*  mfmaIndex:18  */
_ds_load_b32 v[vgprValuA_X1_I0+0], v[vgprLocalReadAddrA] offset:6912 // L -> Reg lro=1728 swapByteOffset=0 ti=32 vIdx=0 rIdx=0 oIdx=0 buffer=1 iui=0
_ds_load_b32 v[vgprValuB_X1_I0+0], v[vgprLocalReadAddrB] offset:3072 // L -> Reg lro=768 swapByteOffset=0 ti=128 vIdx=0 rIdx=0 oIdx=0 buffer=1 iui=0
_ds_load_b32 v[vgprValuA_X1_I0+1], v[vgprLocalReadAddrA] offset:7040 // L -> Reg lro=1728 swapByteOffset=0 ti=32 vIdx=1 rIdx=0 oIdx=0 buffer=1 iui=0
_ds_load_b32 v[vgprValuA_X1_I0+2], v[vgprLocalReadAddrA] offset:7168 // L -> Reg lro=1728 swapByteOffset=0 ti=32 vIdx=2 rIdx=0 oIdx=0 buffer=1 iui=0
	;; [unrolled: 1-line block ×4, first 2 shown]
s_waitcnt lgkmcnt(6)                               // lgkmcnt=0 vmcnt=-1wait for prior local read local write old=0, new=6 newLW=0 newLR=6
v_mfma_f32_32x32x2f32 a[0+0:15+0], v[vgprValuA_X0_I0+0+0+0], v[vgprValuB_X0_I0+0+0+0], a[0:15]
/*  mfmaIndex:19  */
_ds_load_b32 v[vgprValuA_X1_I0+5], v[vgprLocalReadAddrA] offset:7552 // L -> Reg lro=1728 swapByteOffset=0 ti=32 vIdx=5 rIdx=0 oIdx=0 buffer=1 iui=0
_ds_load_b32 v[vgprValuA_X1_I0+6], v[vgprLocalReadAddrA] offset:7680 // L -> Reg lro=1728 swapByteOffset=0 ti=32 vIdx=6 rIdx=0 oIdx=0 buffer=1 iui=0
	;; [unrolled: 1-line block ×4, first 2 shown]
/* localReadsVacancy: latencyLeft 5 */
v_mfma_f32_32x32x2f32 a[16+0:31+0], v[vgprValuA_X0_I0+1+0+0], v[vgprValuB_X0_I0+0+0+0], a[16:31]
/*  mfmaIndex:20  */
/* localReadsVacancy: latencyLeft 13 */
v_mfma_f32_32x32x2f32 a[32+0:47+0], v[vgprValuA_X0_I0+2+0+0], v[vgprValuB_X0_I0+0+0+0], a[32:47]
/*  mfmaIndex:21  */
	;; [unrolled: 3-line block ×7, first 2 shown]
/* localReadsVacancy: latencyLeft 13 */
v_mfma_f32_32x32x2f32 a[128+0:143+0], v[vgprValuA_X0_I0+8+0+0], v[vgprValuB_X0_I0+0+0+0], a[128:143]
/* numPrefetchIter=0 */
/* dataAtIterA=1 numReadsIterA=3 skipReadsIterA=1 readsPerIterA=9 */
/* dataAtIterB=1 numReadsIterB=3 skipReadsIterB=1 readsPerIterB=1 */


	;; [unrolled: 1-line block ×3, first 2 shown]
/* iter 3 (last unrolled loop) */

/*  grEndMfmaIndex:0, lwStartMfmaIndex:31, lwEndMfmaIndex:31  */
/*  numMfmaForLR:2, barrierMfmaIndex:33 */
/*  mfmaIndex:27  */
s_waitcnt lgkmcnt(0)                               // lgkmcnt=0 vmcnt=-1wait for prior local read local write old=0, new=0 newLW=0 newLR=0
v_mfma_f32_32x32x2f32 a[0+0:15+0], v[vgprValuA_X1_I0+0+0+0], v[vgprValuB_X1_I0+0+0+0], a[0:15]
/*  mfmaIndex:28  */
v_mfma_f32_32x32x2f32 a[16+0:31+0], v[vgprValuA_X1_I0+1+0+0], v[vgprValuB_X1_I0+0+0+0], a[16:31]
/*  mfmaIndex:29  */
	;; [unrolled: 2-line block ×8, first 2 shown]
v_mfma_f32_32x32x2f32 a[128+0:143+0], v[vgprValuA_X1_I0+8+0+0], v[vgprValuB_X1_I0+0+0+0], a[128:143]
/* numPrefetchIter=0 */
/* dataAtIterA=2 numReadsIterA=3 skipReadsIterA=0 readsPerIterA=9 */
/* dataAtIterB=2 numReadsIterB=3 skipReadsIterB=0 readsPerIterB=1 */

TailLoopEndL_7:

PrefetchGlobalLastIterEnd_5:

Summation_End_32:
/* endSummation: add vgpr [0...38) to pool */
.set ScalarGlobalReadOffsetA, UNDEF
.set ScalarGlobalReadOffsetB, UNDEF

/* Mapping of Acc register -> C Vgpr register */


	;; [unrolled: 1-line block ×3, first 2 shown]
/* not-LocalSplitU: global write indices */

/* computeStoreVgprs */
v_lshrrev_b32 v4, 6, v[vgprSerial]                 // v4 = v[vgprSerial] / 64
v_lshrrev_b32 v1, 0, v4                            // v1 = v4 / 1
v_mul_lo_u32 v1, 0x20, v1                          // wave coordination offset 1
v_and_b32 v5, 31, v[vgprSerial]                    // v5 = v[vgprSerial] % 32
_v_add_lshl_u32 v1, v5, v1, 0                      // coordination 1 = vwb *(wave_id1 + tid1)
v_mul_lo_u32 v2, v1, s[sgprStrideC1J]              //  offset 1
v_mul_lo_u32 v3, v1, s[sgprStrideD1J]              //  offset 1
v_and_b32 v0, 63, v[vgprSerial]                    // v0 = v[vgprSerial] % 64
v_lshrrev_b32 v0, 5, v0                            // v0 = v0 / 32
v_lshlrev_b32 v0, 0x2, v0                          // thread0 * continuous_output
v_and_b32 v5, 0, v4                                // v5 = v4 % 1
v_mul_lo_u32 v5, 0x20, v5                          // wave coordination offset 0
_v_add_lshl_u32 v0, v5, v0, 0                      // coordination 0 = vwa *(wave_id0 + tid0)
s_mul_i32 s53, 288, s[sgprWorkGroup0]              // wgp0 * MT0
_v_add_u32 v0, s53, v0                             // coord 0 = (tid0/MI_m)*4 + waveG0*MIB_m + MT0*SG0
s_mul_i32 s53, 128, s[sgprWorkGroup1]              // wgp1 * MT1
_v_add_u32 v1, s53, v1                             // coord 1 = (tid0%MI_m) + waveG1*MIB_n + MT1*SG1


/* not-LocalSplitU: global write */

s_cmpk_eq_u32 s[sgprBeta], 0x0                     // Beta == 0
s_cbranch_scc0 GW_Beta_47                          // Branch if Beta is not zero

s_mov_b32 s57, 0x0                                 // STATIC_DIV: divisior=288
s_mul_i32 s56, 0x1c7, s[sgprSizeI]                 // tmp1 = dividend * magic hi
s_lshl_b64 s[56:57], s[56:57], 0x10                // left shift 16 bits
s_mul_i32 s55, s[sgprSizeI], 0x1c72                // tmp0 = dividend * magic lo
s_add_u32 s56, s55, s56                            // add lo
s_addc_u32 s57, s57, 0x0                           // add hi
s_lshr_b64 s[56:57], s[56:57], 0x21                // tmp1 = (dividend * magic) << shift
s_mov_b32 s55, s56                                 // quotient
s_mul_i32 s56, s55, 0x120                          // quotient*divisor
s_sub_u32 s54, s[sgprSizeI], s56                   // rReg = dividend - quotient*divisor
s_add_u32 s55, -0x1, s[sgprNumWorkGroups0]         // 
s_cmp_ge_u32 s[sgprWorkGroup0], s55                // wg0 >= nwg0-1 ?
s_cselect_b32 s54, s54, 0                          // set rMT0
s_cmpk_gt_u32 s54, 0x0                             // rMT0 > 0
s_cbranch_scc1 GW_B0_E1_38                         // jump if edges required
s_and_b32 s54, 127, s[sgprSizeJ]                   // s54 = s[sgprSizeJ] % 128
s_add_u32 s55, -0x1, s[sgprNumWorkGroups1]         // 
s_cmp_ge_u32 s[sgprWorkGroup1], s55                // wg1 >= nwg1-1
s_cselect_b32 s54, s54, 0                          // set rMT1
s_cmpk_gt_u32 s54, 0x0                             // rMT1 > 0
s_cbranch_scc1 GW_B0_E1_38                         // jump if edges required
GW_B0_E0_35:

/* edge=0, allocate 2 sgpr. perBatchTmpS=2 perBatchMaskS=0 perElementMaskS=0 elementsPerBatch=60 */
/* optSingleColVgpr=1 optSharedColVgpr=0 optSGPRUsage=BufferLoad_Mask optSrdIncForRow=1 */

/******************************************/
/* Global Write Alpha Batch #0 (d1,d0,vc1,vc0) = */
/*    (0,0,0,0:vw4); (0,1,0,0:vw4); (0,2,0,0:vw4); (0,3,0,0:vw4); (0,4,0,0:vw4); (0,5,0,0:vw4); (0,6,0,0:vw4); (0,7,0,0:vw4); (0,8,0,0:vw4); (0,9,0,0:vw4); (0,10,0,0:vw4); (0,11,0,0:vw4); (0,12,0,0:vw4); (0,13,0,0:vw4); (0,14,0,0:vw4); (0,15,0,0:vw4); (0,16,0,0:vw4); (0,17,0,0:vw4); (0,18,0,0:vw4); (0,19,0,0:vw4); (0,20,0,0:vw4); (0,21,0,0:vw4); (0,22,0,0:vw4); (0,23,0,0:vw4); (0,24,0,0:vw4); (0,25,0,0:vw4); (0,26,0,0:vw4); (0,27,0,0:vw4); (0,28,0,0:vw4); (0,29,0,0:vw4); (0,30,0,0:vw4); (0,31,0,0:vw4); (0,32,0,0:vw4); (0,33,0,0:vw4); (0,34,0,0:vw4); (0,35,0,0:vw4) */
/******************************************/

/* calc coords, apply mask, and issue loads (if necessary) */
/* (d1,vc1,d0,vc0)=(0,0,0,0) */
/* (d1,vc1,d0,vc0)=(0,0,1,0) */
	;; [unrolled: 1-line block ×36, first 2 shown]
_v_add_lshl_u32 v6, v3, v0, 0x2                    // optSingleColVgpr scaleToBpe: sharedAddrVgpr <- cinRowPtr + coord0, scaled by BPE. BSHERE:coord0=0, coord0Vgpr=0
v_accvgpr_read_b32 v[vgprValuC+8], acc0 // copy acc to vreg[0]
v_accvgpr_read_b32 v[vgprValuC+9], acc1 // copy acc to vreg[1]
v_accvgpr_read_b32 v[vgprValuC+10], acc2 // copy acc to vreg[2]
v_accvgpr_read_b32 v[vgprValuC+11], acc3 // copy acc to vreg[3]
v_accvgpr_read_b32 v[vgprValuC+12], acc4 // copy acc to vreg[4]
v_accvgpr_read_b32 v[vgprValuC+13], acc5 // copy acc to vreg[5]
v_accvgpr_read_b32 v[vgprValuC+14], acc6 // copy acc to vreg[6]
v_accvgpr_read_b32 v[vgprValuC+15], acc7 // copy acc to vreg[7]
v_accvgpr_read_b32 v[vgprValuC+16], acc8 // copy acc to vreg[8]
v_accvgpr_read_b32 v[vgprValuC+17], acc9 // copy acc to vreg[9]
v_accvgpr_read_b32 v[vgprValuC+18], acc10 // copy acc to vreg[10]
v_accvgpr_read_b32 v[vgprValuC+19], acc11 // copy acc to vreg[11]
v_accvgpr_read_b32 v[vgprValuC+20], acc12 // copy acc to vreg[12]
v_accvgpr_read_b32 v[vgprValuC+21], acc13 // copy acc to vreg[13]
v_accvgpr_read_b32 v[vgprValuC+22], acc14 // copy acc to vreg[14]
v_accvgpr_read_b32 v[vgprValuC+23], acc15 // copy acc to vreg[15]
v_accvgpr_read_b32 v[vgprValuC+24], acc16 // copy acc to vreg[16]
v_accvgpr_read_b32 v[vgprValuC+25], acc17 // copy acc to vreg[17]
v_accvgpr_read_b32 v[vgprValuC+26], acc18 // copy acc to vreg[18]
v_accvgpr_read_b32 v[vgprValuC+27], acc19 // copy acc to vreg[19]
v_accvgpr_read_b32 v[vgprValuC+28], acc20 // copy acc to vreg[20]
v_accvgpr_read_b32 v[vgprValuC+29], acc21 // copy acc to vreg[21]
v_accvgpr_read_b32 v[vgprValuC+30], acc22 // copy acc to vreg[22]
v_accvgpr_read_b32 v[vgprValuC+31], acc23 // copy acc to vreg[23]
v_accvgpr_read_b32 v[vgprValuC+32], acc24 // copy acc to vreg[24]
v_accvgpr_read_b32 v[vgprValuC+33], acc25 // copy acc to vreg[25]
v_accvgpr_read_b32 v[vgprValuC+34], acc26 // copy acc to vreg[26]
v_accvgpr_read_b32 v[vgprValuC+35], acc27 // copy acc to vreg[27]
v_accvgpr_read_b32 v[vgprValuC+44], acc28 // copy acc to vreg[28]
v_accvgpr_read_b32 v[vgprValuC+45], acc29 // copy acc to vreg[29]
v_accvgpr_read_b32 v[vgprValuC+46], acc30 // copy acc to vreg[30]
v_accvgpr_read_b32 v[vgprValuC+47], acc31 // copy acc to vreg[31]
v_accvgpr_read_b32 v[vgprValuC+48], acc32 // copy acc to vreg[32]
v_accvgpr_read_b32 v[vgprValuC+49], acc33 // copy acc to vreg[33]
v_accvgpr_read_b32 v[vgprValuC+50], acc34 // copy acc to vreg[34]
v_accvgpr_read_b32 v[vgprValuC+51], acc35 // copy acc to vreg[35]
v_accvgpr_read_b32 v[vgprValuC+52], acc36 // copy acc to vreg[36]
v_accvgpr_read_b32 v[vgprValuC+53], acc37 // copy acc to vreg[37]
v_accvgpr_read_b32 v[vgprValuC+54], acc38 // copy acc to vreg[38]
v_accvgpr_read_b32 v[vgprValuC+55], acc39 // copy acc to vreg[39]
v_accvgpr_read_b32 v[vgprValuC+56], acc40 // copy acc to vreg[40]
v_accvgpr_read_b32 v[vgprValuC+57], acc41 // copy acc to vreg[41]
v_accvgpr_read_b32 v[vgprValuC+58], acc42 // copy acc to vreg[42]
v_accvgpr_read_b32 v[vgprValuC+59], acc43 // copy acc to vreg[43]
v_accvgpr_read_b32 v[vgprValuC+60], acc44 // copy acc to vreg[44]
v_accvgpr_read_b32 v[vgprValuC+61], acc45 // copy acc to vreg[45]
v_accvgpr_read_b32 v[vgprValuC+62], acc46 // copy acc to vreg[46]
v_accvgpr_read_b32 v[vgprValuC+63], acc47 // copy acc to vreg[47]
v_accvgpr_read_b32 v[vgprValuC+64], acc48 // copy acc to vreg[48]
v_accvgpr_read_b32 v[vgprValuC+65], acc49 // copy acc to vreg[49]
v_accvgpr_read_b32 v[vgprValuC+66], acc50 // copy acc to vreg[50]
v_accvgpr_read_b32 v[vgprValuC+67], acc51 // copy acc to vreg[51]
v_accvgpr_read_b32 v[vgprValuC+68], acc52 // copy acc to vreg[52]
v_accvgpr_read_b32 v[vgprValuC+69], acc53 // copy acc to vreg[53]
v_accvgpr_read_b32 v[vgprValuC+70], acc54 // copy acc to vreg[54]
v_accvgpr_read_b32 v[vgprValuC+71], acc55 // copy acc to vreg[55]
v_accvgpr_read_b32 v[vgprValuC+72], acc56 // copy acc to vreg[56]
v_accvgpr_read_b32 v[vgprValuC+73], acc57 // copy acc to vreg[57]
v_accvgpr_read_b32 v[vgprValuC+74], acc58 // copy acc to vreg[58]
v_accvgpr_read_b32 v[vgprValuC+75], acc59 // copy acc to vreg[59]
v_accvgpr_read_b32 v[vgprValuC+76], acc60 // copy acc to vreg[60]
v_accvgpr_read_b32 v[vgprValuC+77], acc61 // copy acc to vreg[61]
v_accvgpr_read_b32 v[vgprValuC+78], acc62 // copy acc to vreg[62]
v_accvgpr_read_b32 v[vgprValuC+79], acc63 // copy acc to vreg[63]
v_accvgpr_read_b32 v[vgprValuC+80], acc64 // copy acc to vreg[64]
v_accvgpr_read_b32 v[vgprValuC+81], acc65 // copy acc to vreg[65]
v_accvgpr_read_b32 v[vgprValuC+82], acc66 // copy acc to vreg[66]
v_accvgpr_read_b32 v[vgprValuC+83], acc67 // copy acc to vreg[67]
v_accvgpr_read_b32 v[vgprValuC+84], acc68 // copy acc to vreg[68]
v_accvgpr_read_b32 v[vgprValuC+85], acc69 // copy acc to vreg[69]
v_accvgpr_read_b32 v[vgprValuC+86], acc70 // copy acc to vreg[70]
v_accvgpr_read_b32 v[vgprValuC+87], acc71 // copy acc to vreg[71]
v_accvgpr_read_b32 v[vgprValuC+88], acc72 // copy acc to vreg[72]
v_accvgpr_read_b32 v[vgprValuC+89], acc73 // copy acc to vreg[73]
v_accvgpr_read_b32 v[vgprValuC+90], acc74 // copy acc to vreg[74]
v_accvgpr_read_b32 v[vgprValuC+91], acc75 // copy acc to vreg[75]
v_accvgpr_read_b32 v[vgprValuC+92], acc76 // copy acc to vreg[76]
v_accvgpr_read_b32 v[vgprValuC+93], acc77 // copy acc to vreg[77]
v_accvgpr_read_b32 v[vgprValuC+94], acc78 // copy acc to vreg[78]
v_accvgpr_read_b32 v[vgprValuC+95], acc79 // copy acc to vreg[79]
v_accvgpr_read_b32 v[vgprValuC+96], acc80 // copy acc to vreg[80]
v_accvgpr_read_b32 v[vgprValuC+97], acc81 // copy acc to vreg[81]
v_accvgpr_read_b32 v[vgprValuC+98], acc82 // copy acc to vreg[82]
v_accvgpr_read_b32 v[vgprValuC+99], acc83 // copy acc to vreg[83]
v_accvgpr_read_b32 v[vgprValuC+100], acc84 // copy acc to vreg[84]
v_accvgpr_read_b32 v[vgprValuC+101], acc85 // copy acc to vreg[85]
v_accvgpr_read_b32 v[vgprValuC+102], acc86 // copy acc to vreg[86]
v_accvgpr_read_b32 v[vgprValuC+103], acc87 // copy acc to vreg[87]
v_accvgpr_read_b32 v[vgprValuC+104], acc88 // copy acc to vreg[88]
v_accvgpr_read_b32 v[vgprValuC+105], acc89 // copy acc to vreg[89]
v_accvgpr_read_b32 v[vgprValuC+106], acc90 // copy acc to vreg[90]
v_accvgpr_read_b32 v[vgprValuC+107], acc91 // copy acc to vreg[91]
v_accvgpr_read_b32 v[vgprValuC+108], acc92 // copy acc to vreg[92]
v_accvgpr_read_b32 v[vgprValuC+109], acc93 // copy acc to vreg[93]
v_accvgpr_read_b32 v[vgprValuC+110], acc94 // copy acc to vreg[94]
v_accvgpr_read_b32 v[vgprValuC+111], acc95 // copy acc to vreg[95]
v_accvgpr_read_b32 v[vgprValuC+112], acc96 // copy acc to vreg[96]
v_accvgpr_read_b32 v[vgprValuC+113], acc97 // copy acc to vreg[97]
v_accvgpr_read_b32 v[vgprValuC+114], acc98 // copy acc to vreg[98]
v_accvgpr_read_b32 v[vgprValuC+115], acc99 // copy acc to vreg[99]
v_accvgpr_read_b32 v[vgprValuC+116], acc100 // copy acc to vreg[100]
v_accvgpr_read_b32 v[vgprValuC+117], acc101 // copy acc to vreg[101]
v_accvgpr_read_b32 v[vgprValuC+118], acc102 // copy acc to vreg[102]
v_accvgpr_read_b32 v[vgprValuC+119], acc103 // copy acc to vreg[103]
v_accvgpr_read_b32 v[vgprValuC+120], acc104 // copy acc to vreg[104]
v_accvgpr_read_b32 v[vgprValuC+121], acc105 // copy acc to vreg[105]
v_accvgpr_read_b32 v[vgprValuC+122], acc106 // copy acc to vreg[106]
v_accvgpr_read_b32 v[vgprValuC+123], acc107 // copy acc to vreg[107]
v_accvgpr_read_b32 v[vgprValuC+124], acc108 // copy acc to vreg[108]
v_accvgpr_read_b32 v[vgprValuC+125], acc109 // copy acc to vreg[109]
v_accvgpr_read_b32 v[vgprValuC+126], acc110 // copy acc to vreg[110]
v_accvgpr_read_b32 v[vgprValuC+127], acc111 // copy acc to vreg[111]
v_accvgpr_read_b32 v[vgprValuC+128], acc112 // copy acc to vreg[112]
v_accvgpr_read_b32 v[vgprValuC+129], acc113 // copy acc to vreg[113]
v_accvgpr_read_b32 v[vgprValuC+130], acc114 // copy acc to vreg[114]
v_accvgpr_read_b32 v[vgprValuC+131], acc115 // copy acc to vreg[115]
v_accvgpr_read_b32 v[vgprValuC+132], acc116 // copy acc to vreg[116]
v_accvgpr_read_b32 v[vgprValuC+133], acc117 // copy acc to vreg[117]
v_accvgpr_read_b32 v[vgprValuC+134], acc118 // copy acc to vreg[118]
v_accvgpr_read_b32 v[vgprValuC+135], acc119 // copy acc to vreg[119]
v_accvgpr_read_b32 v[vgprValuC+136], acc120 // copy acc to vreg[120]
v_accvgpr_read_b32 v[vgprValuC+137], acc121 // copy acc to vreg[121]
v_accvgpr_read_b32 v[vgprValuC+138], acc122 // copy acc to vreg[122]
v_accvgpr_read_b32 v[vgprValuC+139], acc123 // copy acc to vreg[123]
v_accvgpr_read_b32 v[vgprValuC+140], acc124 // copy acc to vreg[124]
v_accvgpr_read_b32 v[vgprValuC+141], acc125 // copy acc to vreg[125]
v_accvgpr_read_b32 v[vgprValuC+142], acc126 // copy acc to vreg[126]
v_accvgpr_read_b32 v[vgprValuC+143], acc127 // copy acc to vreg[127]
v_accvgpr_read_b32 v[vgprValuC+144], acc128 // copy acc to vreg[128]
v_accvgpr_read_b32 v[vgprValuC+145], acc129 // copy acc to vreg[129]
v_accvgpr_read_b32 v[vgprValuC+146], acc130 // copy acc to vreg[130]
v_accvgpr_read_b32 v[vgprValuC+147], acc131 // copy acc to vreg[131]
v_accvgpr_read_b32 v[vgprValuC+148], acc132 // copy acc to vreg[132]
v_accvgpr_read_b32 v[vgprValuC+149], acc133 // copy acc to vreg[133]
v_accvgpr_read_b32 v[vgprValuC+150], acc134 // copy acc to vreg[134]
v_accvgpr_read_b32 v[vgprValuC+151], acc135 // copy acc to vreg[135]
v_accvgpr_read_b32 v[vgprValuC+152], acc136 // copy acc to vreg[136]
v_accvgpr_read_b32 v[vgprValuC+153], acc137 // copy acc to vreg[137]
v_accvgpr_read_b32 v[vgprValuC+154], acc138 // copy acc to vreg[138]
v_accvgpr_read_b32 v[vgprValuC+155], acc139 // copy acc to vreg[139]
v_accvgpr_read_b32 v[vgprValuC+156], acc140 // copy acc to vreg[140]
v_accvgpr_read_b32 v[vgprValuC+157], acc141 // copy acc to vreg[141]
v_accvgpr_read_b32 v[vgprValuC+158], acc142 // copy acc to vreg[142]
v_accvgpr_read_b32 v[vgprValuC+159], acc143 // copy acc to vreg[143]
s_nop 1                                            // 2 wait states required before reading vgpr

/* rC *= alpha batchElements=[(0, 0, 0, 0), (0, 1, 0, 0), (0, 2, 0, 0), (0, 3, 0, 0), (0, 4, 0, 0), (0, 5, 0, 0), (0, 6, 0, 0), (0, 7, 0, 0), (0, 8, 0, 0), (0, 9, 0, 0), (0, 10, 0, 0), (0, 11, 0, 0), (0, 12, 0, 0), (0, 13, 0, 0), (0, 14, 0, 0), (0, 15, 0, 0), (0, 16, 0, 0), (0, 17, 0, 0), (0, 18, 0, 0), (0, 19, 0, 0), (0, 20, 0, 0), (0, 21, 0, 0), (0, 22, 0, 0), (0, 23, 0, 0), (0, 24, 0, 0), (0, 25, 0, 0), (0, 26, 0, 0), (0, 27, 0, 0), (0, 28, 0, 0), (0, 29, 0, 0), (0, 30, 0, 0), (0, 31, 0, 0), (0, 32, 0, 0), (0, 33, 0, 0), (0, 34, 0, 0), (0, 35, 0, 0)] */
v_mul_f32 v[vgprValuC+8], s[sgprAlpha], v[vgprValuC+8] // *= alpha
v_mul_f32 v[vgprValuC+9], s[sgprAlpha], v[vgprValuC+9] // *= alpha
	;; [unrolled: 1-line block ×144, first 2 shown]

/* apply mask, calc new C and issue writes */
_buffer_store_b128 v[8:11], v6, s[sgprSrdD:sgprSrdD+3], 0, offen, offset:0 // store D
_buffer_store_b128 v[12:15], v6, s[sgprSrdD:sgprSrdD+3], 0, offen, offset:32 // store D
	;; [unrolled: 1-line block ×36, first 2 shown]
s_nop 0                                            // 1 wait state required when next inst writes vgprs held by previous dwordx4 store inst
s_branch label_GW_End_46                           // jump to end
GW_B0_E1_38:

/* edge=1, allocate 6 sgpr. perBatchTmpS=4 perBatchMaskS=2 perElementMaskS=0 elementsPerBatch=123 */
/* optSingleColVgpr=0 optSharedColVgpr=0 optSGPRUsage=BufferLoad_Edge_Mask optSrdIncForRow=0 */

/******************************************/
/* Global Write Alpha Edge Batch #0 (d1,d0,vc1,vc0) = */
/*    (0,0,0,0:vw1); (0,0,0,1:vw1); (0,0,0,2:vw1); (0,0,0,3:vw1); (0,1,0,0:vw1); (0,1,0,1:vw1); (0,1,0,2:vw1); (0,1,0,3:vw1); (0,2,0,0:vw1); (0,2,0,1:vw1); (0,2,0,2:vw1); (0,2,0,3:vw1); (0,3,0,0:vw1); (0,3,0,1:vw1); (0,3,0,2:vw1); (0,3,0,3:vw1); (0,4,0,0:vw1); (0,4,0,1:vw1); (0,4,0,2:vw1); (0,4,0,3:vw1); (0,5,0,0:vw1); (0,5,0,1:vw1); (0,5,0,2:vw1); (0,5,0,3:vw1); (0,6,0,0:vw1); (0,6,0,1:vw1); (0,6,0,2:vw1); (0,6,0,3:vw1); (0,7,0,0:vw1); (0,7,0,1:vw1); (0,7,0,2:vw1); (0,7,0,3:vw1); (0,8,0,0:vw1); (0,8,0,1:vw1); (0,8,0,2:vw1); (0,8,0,3:vw1); (0,9,0,0:vw1); (0,9,0,1:vw1); (0,9,0,2:vw1); (0,9,0,3:vw1); (0,10,0,0:vw1); (0,10,0,1:vw1); (0,10,0,2:vw1); (0,10,0,3:vw1); (0,11,0,0:vw1); (0,11,0,1:vw1); (0,11,0,2:vw1); (0,11,0,3:vw1); (0,12,0,0:vw1); (0,12,0,1:vw1); (0,12,0,2:vw1); (0,12,0,3:vw1); (0,13,0,0:vw1); (0,13,0,1:vw1); (0,13,0,2:vw1); (0,13,0,3:vw1); (0,14,0,0:vw1); (0,14,0,1:vw1); (0,14,0,2:vw1); (0,14,0,3:vw1); (0,15,0,0:vw1); (0,15,0,1:vw1); (0,15,0,2:vw1); (0,15,0,3:vw1); (0,16,0,0:vw1); (0,16,0,1:vw1); (0,16,0,2:vw1); (0,16,0,3:vw1); (0,17,0,0:vw1); (0,17,0,1:vw1); (0,17,0,2:vw1); (0,17,0,3:vw1); (0,18,0,0:vw1); (0,18,0,1:vw1); (0,18,0,2:vw1); (0,18,0,3:vw1); (0,19,0,0:vw1); (0,19,0,1:vw1); (0,19,0,2:vw1); (0,19,0,3:vw1); (0,20,0,0:vw1); (0,20,0,1:vw1); (0,20,0,2:vw1); (0,20,0,3:vw1); (0,21,0,0:vw1); (0,21,0,1:vw1); (0,21,0,2:vw1); (0,21,0,3:vw1); (0,22,0,0:vw1); (0,22,0,1:vw1); (0,22,0,2:vw1); (0,22,0,3:vw1); (0,23,0,0:vw1); (0,23,0,1:vw1); (0,23,0,2:vw1); (0,23,0,3:vw1); (0,24,0,0:vw1); (0,24,0,1:vw1); (0,24,0,2:vw1); (0,24,0,3:vw1); (0,25,0,0:vw1); (0,25,0,1:vw1); (0,25,0,2:vw1); (0,25,0,3:vw1); (0,26,0,0:vw1); (0,26,0,1:vw1); (0,26,0,2:vw1); (0,26,0,3:vw1); (0,27,0,0:vw1); (0,27,0,1:vw1); (0,27,0,2:vw1); (0,27,0,3:vw1); (0,28,0,0:vw1); (0,28,0,1:vw1); (0,28,0,2:vw1); (0,28,0,3:vw1); (0,29,0,0:vw1); (0,29,0,1:vw1); (0,29,0,2:vw1); (0,29,0,3:vw1); (0,30,0,0:vw1); (0,30,0,1:vw1); (0,30,0,2:vw1) */
/******************************************/

/* calc coords, apply mask, and issue loads (if necessary) */
/* (d1,vc1,d0,vc0)=(0,0,0,0) */
v_cmp_lt_u32 s[54:55], v0, s[sgprSizeI]            // coord0 < size0
v_cmp_lt_u32 s[58:59], v1, s[sgprSizeJ]            // coord1 < size1
s_and_b64 s[58:59], s[54:55], s[58:59]             // in0 && in1
_v_add_lshl_u32 v6, v3, v0, 0x2                    // scaleToBpe: accumulate d0 lower and *= bpe into Cin addr
v_cndmask_b32 v6, -1, v6, s[58:59]                 // LDD clip if OOB. offset
/* (d1,vc1,d0,vc0)=(0,0,0,1) */
_v_add_co_u32 v4, vcc, v0, 1                       // coord0.1: coord0 += d0*sg0*VW + vc0
v_cmp_lt_u32 s[54:55], v4, s[sgprSizeI]            // coord0 < size0
v_cmp_lt_u32 s[58:59], v1, s[sgprSizeJ]            // coord1 < size1
s_and_b64 s[58:59], s[54:55], s[58:59]             // in0 && in1
_v_add_lshl_u32 v8, v3, v4, 0x2                    // scaleToBpe: accumulate d0 lower and *= bpe into Cin addr
v_cndmask_b32 v8, -1, v8, s[58:59]                 // LDD clip if OOB. offset
/* (d1,vc1,d0,vc0)=(0,0,0,2) */
_v_add_co_u32 v4, vcc, v0, 2                       // coord0.1: coord0 += d0*sg0*VW + vc0
v_cmp_lt_u32 s[54:55], v4, s[sgprSizeI]            // coord0 < size0
v_cmp_lt_u32 s[58:59], v1, s[sgprSizeJ]            // coord1 < size1
s_and_b64 s[58:59], s[54:55], s[58:59]             // in0 && in1
_v_add_lshl_u32 v10, v3, v4, 0x2                   // scaleToBpe: accumulate d0 lower and *= bpe into Cin addr
v_cndmask_b32 v10, -1, v10, s[58:59]               // LDD clip if OOB. offset
/* (d1,vc1,d0,vc0)=(0,0,0,3) */
_v_add_co_u32 v4, vcc, v0, 3                       // coord0.1: coord0 += d0*sg0*VW + vc0
v_cmp_lt_u32 s[54:55], v4, s[sgprSizeI]            // coord0 < size0
v_cmp_lt_u32 s[58:59], v1, s[sgprSizeJ]            // coord1 < size1
s_and_b64 s[58:59], s[54:55], s[58:59]             // in0 && in1
_v_add_lshl_u32 v12, v3, v4, 0x2                   // scaleToBpe: accumulate d0 lower and *= bpe into Cin addr
v_cndmask_b32 v12, -1, v12, s[58:59]               // LDD clip if OOB. offset
	;; [unrolled: 7-line block ×4, first 2 shown]
/* (d1,vc1,d0,vc0)=(0,0,1,2) */
_v_add_co_u32 v4, vcc, v0, 10                      // coord0.1: coord0 += d0*sg0*VW + vc0
v_cmp_lt_u32 s[54:55], v4, s[sgprSizeI]            // coord0 < size0
v_cmp_lt_u32 s[58:59], v1, s[sgprSizeJ]            // coord1 < size1
s_and_b64 s[58:59], s[54:55], s[58:59]             // in0 && in1
_v_add_lshl_u32 v18, v3, v4, 0x2                   // scaleToBpe: accumulate d0 lower and *= bpe into Cin addr
v_cndmask_b32 v18, -1, v18, s[58:59]               // LDD clip if OOB. offset
/* (d1,vc1,d0,vc0)=(0,0,1,3) */
_v_add_co_u32 v4, vcc, v0, 11                      // coord0.1: coord0 += d0*sg0*VW + vc0
v_cmp_lt_u32 s[54:55], v4, s[sgprSizeI]            // coord0 < size0
v_cmp_lt_u32 s[58:59], v1, s[sgprSizeJ]            // coord1 < size1
s_and_b64 s[58:59], s[54:55], s[58:59]             // in0 && in1
_v_add_lshl_u32 v20, v3, v4, 0x2                   // scaleToBpe: accumulate d0 lower and *= bpe into Cin addr
v_cndmask_b32 v20, -1, v20, s[58:59]               // LDD clip if OOB. offset
	;; [unrolled: 7-line block ×27, first 2 shown]
/* (d1,vc1,d0,vc0)=(0,0,8,1) */
s_mov_b32 s54, 65                                  // coordOffset0 d0=8 vc0=1
_v_add_co_u32 v4, vcc, v0, s54                     // coord0.2: coord0 += d0*sg0*VW + vc0
v_cmp_lt_u32 s[54:55], v4, s[sgprSizeI]            // coord0 < size0
v_cmp_lt_u32 s[58:59], v1, s[sgprSizeJ]            // coord1 < size1
s_and_b64 s[58:59], s[54:55], s[58:59]             // in0 && in1
_v_add_lshl_u32 v75, v3, v4, 0x2                   // scaleToBpe: accumulate d0 lower and *= bpe into Cin addr
v_cndmask_b32 v75, -1, v75, s[58:59]               // LDD clip if OOB. offset
/* (d1,vc1,d0,vc0)=(0,0,8,2) */
s_mov_b32 s54, 66                                  // coordOffset0 d0=8 vc0=2
_v_add_co_u32 v4, vcc, v0, s54                     // coord0.2: coord0 += d0*sg0*VW + vc0
v_cmp_lt_u32 s[54:55], v4, s[sgprSizeI]            // coord0 < size0
v_cmp_lt_u32 s[58:59], v1, s[sgprSizeJ]            // coord1 < size1
s_and_b64 s[58:59], s[54:55], s[58:59]             // in0 && in1
_v_add_lshl_u32 v77, v3, v4, 0x2                   // scaleToBpe: accumulate d0 lower and *= bpe into Cin addr
v_cndmask_b32 v77, -1, v77, s[58:59]               // LDD clip if OOB. offset
	;; [unrolled: 8-line block ×13, first 2 shown]
/* (d1,vc1,d0,vc0)=(0,0,11,2) */
s_mov_b32 s54, 90                                  // coordOffset0 d0=11 vc0=2
_v_add_co_u32 v4, vcc, v0, s54                     // coord0.2: coord0 += d0*sg0*VW + vc0
v_cmp_lt_u32 s[54:55], v4, s[sgprSizeI]            // coord0 < size0
v_cmp_lt_u32 s[58:59], v1, s[sgprSizeJ]            // coord1 < size1
s_and_b64 s[58:59], s[54:55], s[58:59]             // in0 && in1
_v_add_lshl_u32 v101, v3, v4, 0x2                  // scaleToBpe: accumulate d0 lower and *= bpe into Cin addr
v_cndmask_b32 v101, -1, v101, s[58:59]             // LDD clip if OOB. offset
/* (d1,vc1,d0,vc0)=(0,0,11,3) */
s_mov_b32 s54, 91                                  // coordOffset0 d0=11 vc0=3
_v_add_co_u32 v4, vcc, v0, s54                     // coord0.2: coord0 += d0*sg0*VW + vc0
v_cmp_lt_u32 s[54:55], v4, s[sgprSizeI]            // coord0 < size0
v_cmp_lt_u32 s[58:59], v1, s[sgprSizeJ]            // coord1 < size1
s_and_b64 s[58:59], s[54:55], s[58:59]             // in0 && in1
_v_add_lshl_u32 v103, v3, v4, 0x2                  // scaleToBpe: accumulate d0 lower and *= bpe into Cin addr
v_cndmask_b32 v103, -1, v103, s[58:59]             // LDD clip if OOB. offset
	;; [unrolled: 8-line block ×6, first 2 shown]
/* (d1,vc1,d0,vc0)=(0,0,13,0) */
s_mov_b32 s54, 104                                 // coordOffset0 d0=13 vc0=0
_v_add_co_u32 v4, vcc, v0, s54                     // coord0.2: coord0 += d0*sg0*VW + vc0
v_cmp_lt_u32 s[54:55], v4, s[sgprSizeI]            // coord0 < size0
v_cmp_lt_u32 s[58:59], v1, s[sgprSizeJ]            // coord1 < size1
s_and_b64 s[58:59], s[54:55], s[58:59]             // in0 && in1
_v_add_lshl_u32 v113, v3, v4, 0x2                  // scaleToBpe: accumulate d0 lower and *= bpe into Cin addr
v_cndmask_b32 v113, -1, v113, s[58:59]             // LDD clip if OOB. offset
/* (d1,vc1,d0,vc0)=(0,0,13,1) */
s_mov_b32 s54, 105                                 // coordOffset0 d0=13 vc0=1
_v_add_co_u32 v4, vcc, v0, s54                     // coord0.2: coord0 += d0*sg0*VW + vc0
v_cmp_lt_u32 s[54:55], v4, s[sgprSizeI]            // coord0 < size0
v_cmp_lt_u32 s[58:59], v1, s[sgprSizeJ]            // coord1 < size1
s_and_b64 s[58:59], s[54:55], s[58:59]             // in0 && in1
_v_add_lshl_u32 v115, v3, v4, 0x2                  // scaleToBpe: accumulate d0 lower and *= bpe into Cin addr
v_cndmask_b32 v115, -1, v115, s[58:59]             // LDD clip if OOB. offset
	;; [unrolled: 8-line block ×71, first 2 shown]
v_accvgpr_read_b32 v[vgprValuC+7], acc0 // copy acc to vreg[0]
v_accvgpr_read_b32 v[vgprValuC+9], acc1 // copy acc to vreg[1]
v_accvgpr_read_b32 v[vgprValuC+11], acc2 // copy acc to vreg[2]
v_accvgpr_read_b32 v[vgprValuC+13], acc3 // copy acc to vreg[3]
v_accvgpr_read_b32 v[vgprValuC+15], acc4 // copy acc to vreg[4]
v_accvgpr_read_b32 v[vgprValuC+17], acc5 // copy acc to vreg[5]
v_accvgpr_read_b32 v[vgprValuC+19], acc6 // copy acc to vreg[6]
v_accvgpr_read_b32 v[vgprValuC+21], acc7 // copy acc to vreg[7]
v_accvgpr_read_b32 v[vgprValuC+23], acc8 // copy acc to vreg[8]
v_accvgpr_read_b32 v[vgprValuC+25], acc9 // copy acc to vreg[9]
v_accvgpr_read_b32 v[vgprValuC+27], acc10 // copy acc to vreg[10]
v_accvgpr_read_b32 v[vgprValuC+29], acc11 // copy acc to vreg[11]
v_accvgpr_read_b32 v[vgprValuC+31], acc12 // copy acc to vreg[12]
v_accvgpr_read_b32 v[vgprValuC+33], acc13 // copy acc to vreg[13]
v_accvgpr_read_b32 v[vgprValuC+35], acc14 // copy acc to vreg[14]
v_accvgpr_read_b32 v[vgprValuC+37], acc15 // copy acc to vreg[15]
v_accvgpr_read_b32 v[vgprValuC+42], acc16 // copy acc to vreg[16]
v_accvgpr_read_b32 v[vgprValuC+44], acc17 // copy acc to vreg[17]
v_accvgpr_read_b32 v[vgprValuC+46], acc18 // copy acc to vreg[18]
v_accvgpr_read_b32 v[vgprValuC+48], acc19 // copy acc to vreg[19]
v_accvgpr_read_b32 v[vgprValuC+50], acc20 // copy acc to vreg[20]
v_accvgpr_read_b32 v[vgprValuC+52], acc21 // copy acc to vreg[21]
v_accvgpr_read_b32 v[vgprValuC+54], acc22 // copy acc to vreg[22]
v_accvgpr_read_b32 v[vgprValuC+56], acc23 // copy acc to vreg[23]
v_accvgpr_read_b32 v[vgprValuC+58], acc24 // copy acc to vreg[24]
v_accvgpr_read_b32 v[vgprValuC+60], acc25 // copy acc to vreg[25]
v_accvgpr_read_b32 v[vgprValuC+62], acc26 // copy acc to vreg[26]
v_accvgpr_read_b32 v[vgprValuC+64], acc27 // copy acc to vreg[27]
v_accvgpr_read_b32 v[vgprValuC+66], acc28 // copy acc to vreg[28]
v_accvgpr_read_b32 v[vgprValuC+68], acc29 // copy acc to vreg[29]
v_accvgpr_read_b32 v[vgprValuC+70], acc30 // copy acc to vreg[30]
v_accvgpr_read_b32 v[vgprValuC+72], acc31 // copy acc to vreg[31]
v_accvgpr_read_b32 v[vgprValuC+74], acc32 // copy acc to vreg[32]
v_accvgpr_read_b32 v[vgprValuC+76], acc33 // copy acc to vreg[33]
v_accvgpr_read_b32 v[vgprValuC+78], acc34 // copy acc to vreg[34]
v_accvgpr_read_b32 v[vgprValuC+80], acc35 // copy acc to vreg[35]
v_accvgpr_read_b32 v[vgprValuC+82], acc36 // copy acc to vreg[36]
v_accvgpr_read_b32 v[vgprValuC+84], acc37 // copy acc to vreg[37]
v_accvgpr_read_b32 v[vgprValuC+86], acc38 // copy acc to vreg[38]
v_accvgpr_read_b32 v[vgprValuC+88], acc39 // copy acc to vreg[39]
v_accvgpr_read_b32 v[vgprValuC+90], acc40 // copy acc to vreg[40]
v_accvgpr_read_b32 v[vgprValuC+92], acc41 // copy acc to vreg[41]
v_accvgpr_read_b32 v[vgprValuC+94], acc42 // copy acc to vreg[42]
v_accvgpr_read_b32 v[vgprValuC+96], acc43 // copy acc to vreg[43]
v_accvgpr_read_b32 v[vgprValuC+98], acc44 // copy acc to vreg[44]
v_accvgpr_read_b32 v[vgprValuC+100], acc45 // copy acc to vreg[45]
v_accvgpr_read_b32 v[vgprValuC+102], acc46 // copy acc to vreg[46]
v_accvgpr_read_b32 v[vgprValuC+104], acc47 // copy acc to vreg[47]
v_accvgpr_read_b32 v[vgprValuC+106], acc48 // copy acc to vreg[48]
v_accvgpr_read_b32 v[vgprValuC+108], acc49 // copy acc to vreg[49]
v_accvgpr_read_b32 v[vgprValuC+110], acc50 // copy acc to vreg[50]
v_accvgpr_read_b32 v[vgprValuC+112], acc51 // copy acc to vreg[51]
v_accvgpr_read_b32 v[vgprValuC+114], acc52 // copy acc to vreg[52]
v_accvgpr_read_b32 v[vgprValuC+116], acc53 // copy acc to vreg[53]
v_accvgpr_read_b32 v[vgprValuC+118], acc54 // copy acc to vreg[54]
v_accvgpr_read_b32 v[vgprValuC+120], acc55 // copy acc to vreg[55]
v_accvgpr_read_b32 v[vgprValuC+122], acc56 // copy acc to vreg[56]
v_accvgpr_read_b32 v[vgprValuC+124], acc57 // copy acc to vreg[57]
v_accvgpr_read_b32 v[vgprValuC+126], acc58 // copy acc to vreg[58]
v_accvgpr_read_b32 v[vgprValuC+128], acc59 // copy acc to vreg[59]
v_accvgpr_read_b32 v[vgprValuC+130], acc60 // copy acc to vreg[60]
v_accvgpr_read_b32 v[vgprValuC+132], acc61 // copy acc to vreg[61]
v_accvgpr_read_b32 v[vgprValuC+134], acc62 // copy acc to vreg[62]
v_accvgpr_read_b32 v[vgprValuC+136], acc63 // copy acc to vreg[63]
v_accvgpr_read_b32 v[vgprValuC+138], acc64 // copy acc to vreg[64]
v_accvgpr_read_b32 v[vgprValuC+140], acc65 // copy acc to vreg[65]
v_accvgpr_read_b32 v[vgprValuC+142], acc66 // copy acc to vreg[66]
v_accvgpr_read_b32 v[vgprValuC+144], acc67 // copy acc to vreg[67]
v_accvgpr_read_b32 v[vgprValuC+146], acc68 // copy acc to vreg[68]
v_accvgpr_read_b32 v[vgprValuC+148], acc69 // copy acc to vreg[69]
v_accvgpr_read_b32 v[vgprValuC+150], acc70 // copy acc to vreg[70]
v_accvgpr_read_b32 v[vgprValuC+152], acc71 // copy acc to vreg[71]
v_accvgpr_read_b32 v[vgprValuC+154], acc72 // copy acc to vreg[72]
v_accvgpr_read_b32 v[vgprValuC+156], acc73 // copy acc to vreg[73]
v_accvgpr_read_b32 v[vgprValuC+158], acc74 // copy acc to vreg[74]
v_accvgpr_read_b32 v[vgprValuC+160], acc75 // copy acc to vreg[75]
v_accvgpr_read_b32 v[vgprValuC+162], acc76 // copy acc to vreg[76]
v_accvgpr_read_b32 v[vgprValuC+164], acc77 // copy acc to vreg[77]
v_accvgpr_read_b32 v[vgprValuC+166], acc78 // copy acc to vreg[78]
v_accvgpr_read_b32 v[vgprValuC+168], acc79 // copy acc to vreg[79]
v_accvgpr_read_b32 v[vgprValuC+170], acc80 // copy acc to vreg[80]
v_accvgpr_read_b32 v[vgprValuC+172], acc81 // copy acc to vreg[81]
v_accvgpr_read_b32 v[vgprValuC+174], acc82 // copy acc to vreg[82]
v_accvgpr_read_b32 v[vgprValuC+176], acc83 // copy acc to vreg[83]
v_accvgpr_read_b32 v[vgprValuC+178], acc84 // copy acc to vreg[84]
v_accvgpr_read_b32 v[vgprValuC+180], acc85 // copy acc to vreg[85]
v_accvgpr_read_b32 v[vgprValuC+182], acc86 // copy acc to vreg[86]
v_accvgpr_read_b32 v[vgprValuC+184], acc87 // copy acc to vreg[87]
v_accvgpr_read_b32 v[vgprValuC+186], acc88 // copy acc to vreg[88]
v_accvgpr_read_b32 v[vgprValuC+188], acc89 // copy acc to vreg[89]
v_accvgpr_read_b32 v[vgprValuC+190], acc90 // copy acc to vreg[90]
v_accvgpr_read_b32 v[vgprValuC+192], acc91 // copy acc to vreg[91]
v_accvgpr_read_b32 v[vgprValuC+194], acc92 // copy acc to vreg[92]
v_accvgpr_read_b32 v[vgprValuC+196], acc93 // copy acc to vreg[93]
v_accvgpr_read_b32 v[vgprValuC+198], acc94 // copy acc to vreg[94]
v_accvgpr_read_b32 v[vgprValuC+200], acc95 // copy acc to vreg[95]
v_accvgpr_read_b32 v[vgprValuC+202], acc96 // copy acc to vreg[96]
v_accvgpr_read_b32 v[vgprValuC+204], acc97 // copy acc to vreg[97]
v_accvgpr_read_b32 v[vgprValuC+206], acc98 // copy acc to vreg[98]
v_accvgpr_read_b32 v[vgprValuC+208], acc99 // copy acc to vreg[99]
v_accvgpr_read_b32 v[vgprValuC+210], acc100 // copy acc to vreg[100]
v_accvgpr_read_b32 v[vgprValuC+212], acc101 // copy acc to vreg[101]
v_accvgpr_read_b32 v[vgprValuC+214], acc102 // copy acc to vreg[102]
v_accvgpr_read_b32 v[vgprValuC+216], acc103 // copy acc to vreg[103]
v_accvgpr_read_b32 v[vgprValuC+218], acc104 // copy acc to vreg[104]
v_accvgpr_read_b32 v[vgprValuC+220], acc105 // copy acc to vreg[105]
v_accvgpr_read_b32 v[vgprValuC+222], acc106 // copy acc to vreg[106]
v_accvgpr_read_b32 v[vgprValuC+224], acc107 // copy acc to vreg[107]
v_accvgpr_read_b32 v[vgprValuC+226], acc108 // copy acc to vreg[108]
v_accvgpr_read_b32 v[vgprValuC+228], acc109 // copy acc to vreg[109]
v_accvgpr_read_b32 v[vgprValuC+230], acc110 // copy acc to vreg[110]
v_accvgpr_read_b32 v[vgprValuC+232], acc111 // copy acc to vreg[111]
v_accvgpr_read_b32 v[vgprValuC+234], acc112 // copy acc to vreg[112]
v_accvgpr_read_b32 v[vgprValuC+236], acc113 // copy acc to vreg[113]
v_accvgpr_read_b32 v[vgprValuC+238], acc114 // copy acc to vreg[114]
v_accvgpr_read_b32 v[vgprValuC+240], acc115 // copy acc to vreg[115]
v_accvgpr_read_b32 v[vgprValuC+242], acc116 // copy acc to vreg[116]
v_accvgpr_read_b32 v[vgprValuC+244], acc117 // copy acc to vreg[117]
v_accvgpr_read_b32 v[vgprValuC+246], acc118 // copy acc to vreg[118]
v_accvgpr_read_b32 v[vgprValuC+248], acc119 // copy acc to vreg[119]
v_accvgpr_read_b32 v[vgprValuC+250], acc120 // copy acc to vreg[120]
v_accvgpr_read_b32 v[vgprValuC+252], acc121 // copy acc to vreg[121]
v_accvgpr_read_b32 v[vgprValuC+254], acc122 // copy acc to vreg[122]
s_nop 1                                            // 2 wait states required before reading vgpr

/* rC *= alpha batchElements=[(0, 0, 0, 0), (0, 0, 0, 1), (0, 0, 0, 2), (0, 0, 0, 3), (0, 1, 0, 0), (0, 1, 0, 1), (0, 1, 0, 2), (0, 1, 0, 3), (0, 2, 0, 0), (0, 2, 0, 1), (0, 2, 0, 2), (0, 2, 0, 3), (0, 3, 0, 0), (0, 3, 0, 1), (0, 3, 0, 2), (0, 3, 0, 3), (0, 4, 0, 0), (0, 4, 0, 1), (0, 4, 0, 2), (0, 4, 0, 3), (0, 5, 0, 0), (0, 5, 0, 1), (0, 5, 0, 2), (0, 5, 0, 3), (0, 6, 0, 0), (0, 6, 0, 1), (0, 6, 0, 2), (0, 6, 0, 3), (0, 7, 0, 0), (0, 7, 0, 1), (0, 7, 0, 2), (0, 7, 0, 3), (0, 8, 0, 0), (0, 8, 0, 1), (0, 8, 0, 2), (0, 8, 0, 3), (0, 9, 0, 0), (0, 9, 0, 1), (0, 9, 0, 2), (0, 9, 0, 3), (0, 10, 0, 0), (0, 10, 0, 1), (0, 10, 0, 2), (0, 10, 0, 3), (0, 11, 0, 0), (0, 11, 0, 1), (0, 11, 0, 2), (0, 11, 0, 3), (0, 12, 0, 0), (0, 12, 0, 1), (0, 12, 0, 2), (0, 12, 0, 3), (0, 13, 0, 0), (0, 13, 0, 1), (0, 13, 0, 2), (0, 13, 0, 3), (0, 14, 0, 0), (0, 14, 0, 1), (0, 14, 0, 2), (0, 14, 0, 3), (0, 15, 0, 0), (0, 15, 0, 1), (0, 15, 0, 2), (0, 15, 0, 3), (0, 16, 0, 0), (0, 16, 0, 1), (0, 16, 0, 2), (0, 16, 0, 3), (0, 17, 0, 0), (0, 17, 0, 1), (0, 17, 0, 2), (0, 17, 0, 3), (0, 18, 0, 0), (0, 18, 0, 1), (0, 18, 0, 2), (0, 18, 0, 3), (0, 19, 0, 0), (0, 19, 0, 1), (0, 19, 0, 2), (0, 19, 0, 3), (0, 20, 0, 0), (0, 20, 0, 1), (0, 20, 0, 2), (0, 20, 0, 3), (0, 21, 0, 0), (0, 21, 0, 1), (0, 21, 0, 2), (0, 21, 0, 3), (0, 22, 0, 0), (0, 22, 0, 1), (0, 22, 0, 2), (0, 22, 0, 3), (0, 23, 0, 0), (0, 23, 0, 1), (0, 23, 0, 2), (0, 23, 0, 3), (0, 24, 0, 0), (0, 24, 0, 1), (0, 24, 0, 2), (0, 24, 0, 3), (0, 25, 0, 0), (0, 25, 0, 1), (0, 25, 0, 2), (0, 25, 0, 3), (0, 26, 0, 0), (0, 26, 0, 1), (0, 26, 0, 2), (0, 26, 0, 3), (0, 27, 0, 0), (0, 27, 0, 1), (0, 27, 0, 2), (0, 27, 0, 3), (0, 28, 0, 0), (0, 28, 0, 1), (0, 28, 0, 2), (0, 28, 0, 3), (0, 29, 0, 0), (0, 29, 0, 1), (0, 29, 0, 2), (0, 29, 0, 3), (0, 30, 0, 0), (0, 30, 0, 1), (0, 30, 0, 2)] */
v_mul_f32 v[vgprValuC+7], s[sgprAlpha], v[vgprValuC+7] // *= alpha
v_mul_f32 v[vgprValuC+9], s[sgprAlpha], v[vgprValuC+9] // *= alpha
	;; [unrolled: 1-line block ×123, first 2 shown]

/* apply mask, calc new C and issue writes */
_buffer_store_b32 v7, v6, s[sgprSrdD:sgprSrdD+3], 0, offen, offset:0 // store D
_buffer_store_b32 v9, v8, s[sgprSrdD:sgprSrdD+3], 0, offen, offset:0 // store D
	;; [unrolled: 1-line block ×123, first 2 shown]
s_nop 0                                            // 1 wait state required when next inst writes vgprs held by previous dwordx4 store inst
/* optSingleColVgpr=0 optSharedColVgpr=0 optSGPRUsage=BufferLoad_Edge_Mask optSrdIncForRow=0 */

/******************************************/
/* Global Write Alpha Edge Batch #1 (d1,d0,vc1,vc0) = */
/*    (0,30,0,3:vw1); (0,31,0,0:vw1); (0,31,0,1:vw1); (0,31,0,2:vw1); (0,31,0,3:vw1); (0,32,0,0:vw1); (0,32,0,1:vw1); (0,32,0,2:vw1); (0,32,0,3:vw1); (0,33,0,0:vw1); (0,33,0,1:vw1); (0,33,0,2:vw1); (0,33,0,3:vw1); (0,34,0,0:vw1); (0,34,0,1:vw1); (0,34,0,2:vw1); (0,34,0,3:vw1); (0,35,0,0:vw1); (0,35,0,1:vw1); (0,35,0,2:vw1); (0,35,0,3:vw1) */
/******************************************/

/* calc coords, apply mask, and issue loads (if necessary) */
/* (d1,vc1,d0,vc0)=(0,0,30,3) */
s_mov_b32 s54, 243                                 // coordOffset0 d0=30 vc0=3
_v_add_co_u32 v4, vcc, v0, s54                     // coord0.2: coord0 += d0*sg0*VW + vc0
v_cmp_lt_u32 s[54:55], v4, s[sgprSizeI]            // coord0 < size0
v_cmp_lt_u32 s[58:59], v1, s[sgprSizeJ]            // coord1 < size1
s_and_b64 s[58:59], s[54:55], s[58:59]             // in0 && in1
_v_add_lshl_u32 v6, v3, v4, 0x2                    // scaleToBpe: accumulate d0 lower and *= bpe into Cin addr
v_cndmask_b32 v6, -1, v6, s[58:59]                 // LDD clip if OOB. offset
/* (d1,vc1,d0,vc0)=(0,0,31,0) */
s_mov_b32 s54, 248                                 // coordOffset0 d0=31 vc0=0
_v_add_co_u32 v4, vcc, v0, s54                     // coord0.2: coord0 += d0*sg0*VW + vc0
v_cmp_lt_u32 s[54:55], v4, s[sgprSizeI]            // coord0 < size0
v_cmp_lt_u32 s[58:59], v1, s[sgprSizeJ]            // coord1 < size1
s_and_b64 s[58:59], s[54:55], s[58:59]             // in0 && in1
_v_add_lshl_u32 v8, v3, v4, 0x2                    // scaleToBpe: accumulate d0 lower and *= bpe into Cin addr
v_cndmask_b32 v8, -1, v8, s[58:59]                 // LDD clip if OOB. offset
/* (d1,vc1,d0,vc0)=(0,0,31,1) */
s_mov_b32 s54, 249                                 // coordOffset0 d0=31 vc0=1
_v_add_co_u32 v4, vcc, v0, s54                     // coord0.2: coord0 += d0*sg0*VW + vc0
v_cmp_lt_u32 s[54:55], v4, s[sgprSizeI]            // coord0 < size0
v_cmp_lt_u32 s[58:59], v1, s[sgprSizeJ]            // coord1 < size1
s_and_b64 s[58:59], s[54:55], s[58:59]             // in0 && in1
_v_add_lshl_u32 v10, v3, v4, 0x2                   // scaleToBpe: accumulate d0 lower and *= bpe into Cin addr
v_cndmask_b32 v10, -1, v10, s[58:59]               // LDD clip if OOB. offset
/* (d1,vc1,d0,vc0)=(0,0,31,2) */
s_mov_b32 s54, 250                                 // coordOffset0 d0=31 vc0=2
_v_add_co_u32 v4, vcc, v0, s54                     // coord0.2: coord0 += d0*sg0*VW + vc0
v_cmp_lt_u32 s[54:55], v4, s[sgprSizeI]            // coord0 < size0
v_cmp_lt_u32 s[58:59], v1, s[sgprSizeJ]            // coord1 < size1
s_and_b64 s[58:59], s[54:55], s[58:59]             // in0 && in1
_v_add_lshl_u32 v12, v3, v4, 0x2                   // scaleToBpe: accumulate d0 lower and *= bpe into Cin addr
v_cndmask_b32 v12, -1, v12, s[58:59]               // LDD clip if OOB. offset
	;; [unrolled: 8-line block ×19, first 2 shown]
v_accvgpr_read_b32 v[vgprValuC+7], acc123 // copy acc to vreg[123]
v_accvgpr_read_b32 v[vgprValuC+9], acc124 // copy acc to vreg[124]
v_accvgpr_read_b32 v[vgprValuC+11], acc125 // copy acc to vreg[125]
v_accvgpr_read_b32 v[vgprValuC+13], acc126 // copy acc to vreg[126]
v_accvgpr_read_b32 v[vgprValuC+15], acc127 // copy acc to vreg[127]
v_accvgpr_read_b32 v[vgprValuC+17], acc128 // copy acc to vreg[128]
v_accvgpr_read_b32 v[vgprValuC+19], acc129 // copy acc to vreg[129]
v_accvgpr_read_b32 v[vgprValuC+21], acc130 // copy acc to vreg[130]
v_accvgpr_read_b32 v[vgprValuC+23], acc131 // copy acc to vreg[131]
v_accvgpr_read_b32 v[vgprValuC+25], acc132 // copy acc to vreg[132]
v_accvgpr_read_b32 v[vgprValuC+27], acc133 // copy acc to vreg[133]
v_accvgpr_read_b32 v[vgprValuC+29], acc134 // copy acc to vreg[134]
v_accvgpr_read_b32 v[vgprValuC+31], acc135 // copy acc to vreg[135]
v_accvgpr_read_b32 v[vgprValuC+33], acc136 // copy acc to vreg[136]
v_accvgpr_read_b32 v[vgprValuC+35], acc137 // copy acc to vreg[137]
v_accvgpr_read_b32 v[vgprValuC+37], acc138 // copy acc to vreg[138]
v_accvgpr_read_b32 v[vgprValuC+42], acc139 // copy acc to vreg[139]
v_accvgpr_read_b32 v[vgprValuC+44], acc140 // copy acc to vreg[140]
v_accvgpr_read_b32 v[vgprValuC+46], acc141 // copy acc to vreg[141]
v_accvgpr_read_b32 v[vgprValuC+48], acc142 // copy acc to vreg[142]
v_accvgpr_read_b32 v[vgprValuC+50], acc143 // copy acc to vreg[143]
s_nop 1                                            // 2 wait states required before reading vgpr

/* rC *= alpha batchElements=[(0, 30, 0, 3), (0, 31, 0, 0), (0, 31, 0, 1), (0, 31, 0, 2), (0, 31, 0, 3), (0, 32, 0, 0), (0, 32, 0, 1), (0, 32, 0, 2), (0, 32, 0, 3), (0, 33, 0, 0), (0, 33, 0, 1), (0, 33, 0, 2), (0, 33, 0, 3), (0, 34, 0, 0), (0, 34, 0, 1), (0, 34, 0, 2), (0, 34, 0, 3), (0, 35, 0, 0), (0, 35, 0, 1), (0, 35, 0, 2), (0, 35, 0, 3)] */
v_mul_f32 v[vgprValuC+7], s[sgprAlpha], v[vgprValuC+7] // *= alpha
v_mul_f32 v[vgprValuC+9], s[sgprAlpha], v[vgprValuC+9] // *= alpha
v_mul_f32 v[vgprValuC+11], s[sgprAlpha], v[vgprValuC+11] // *= alpha
v_mul_f32 v[vgprValuC+13], s[sgprAlpha], v[vgprValuC+13] // *= alpha
v_mul_f32 v[vgprValuC+15], s[sgprAlpha], v[vgprValuC+15] // *= alpha
v_mul_f32 v[vgprValuC+17], s[sgprAlpha], v[vgprValuC+17] // *= alpha
v_mul_f32 v[vgprValuC+19], s[sgprAlpha], v[vgprValuC+19] // *= alpha
v_mul_f32 v[vgprValuC+21], s[sgprAlpha], v[vgprValuC+21] // *= alpha
v_mul_f32 v[vgprValuC+23], s[sgprAlpha], v[vgprValuC+23] // *= alpha
v_mul_f32 v[vgprValuC+25], s[sgprAlpha], v[vgprValuC+25] // *= alpha
v_mul_f32 v[vgprValuC+27], s[sgprAlpha], v[vgprValuC+27] // *= alpha
v_mul_f32 v[vgprValuC+29], s[sgprAlpha], v[vgprValuC+29] // *= alpha
v_mul_f32 v[vgprValuC+31], s[sgprAlpha], v[vgprValuC+31] // *= alpha
v_mul_f32 v[vgprValuC+33], s[sgprAlpha], v[vgprValuC+33] // *= alpha
v_mul_f32 v[vgprValuC+35], s[sgprAlpha], v[vgprValuC+35] // *= alpha
v_mul_f32 v[vgprValuC+37], s[sgprAlpha], v[vgprValuC+37] // *= alpha
v_mul_f32 v[vgprValuC+42], s[sgprAlpha], v[vgprValuC+42] // *= alpha
v_mul_f32 v[vgprValuC+44], s[sgprAlpha], v[vgprValuC+44] // *= alpha
v_mul_f32 v[vgprValuC+46], s[sgprAlpha], v[vgprValuC+46] // *= alpha
v_mul_f32 v[vgprValuC+48], s[sgprAlpha], v[vgprValuC+48] // *= alpha
v_mul_f32 v[vgprValuC+50], s[sgprAlpha], v[vgprValuC+50] // *= alpha

/* apply mask, calc new C and issue writes */
_buffer_store_b32 v7, v6, s[sgprSrdD:sgprSrdD+3], 0, offen, offset:0 // store D
_buffer_store_b32 v9, v8, s[sgprSrdD:sgprSrdD+3], 0, offen, offset:0 // store D
	;; [unrolled: 1-line block ×21, first 2 shown]
s_nop 0                                            // 1 wait state required when next inst writes vgprs held by previous dwordx4 store inst
s_branch label_GW_End_46                           // jump to end
GW_Beta_47:
s_mov_b32 s57, 0x0                                 // STATIC_DIV: divisior=288
s_mul_i32 s56, 0x1c7, s[sgprSizeI]                 // tmp1 = dividend * magic hi
s_lshl_b64 s[56:57], s[56:57], 0x10                // left shift 16 bits
s_mul_i32 s55, s[sgprSizeI], 0x1c72                // tmp0 = dividend * magic lo
s_add_u32 s56, s55, s56                            // add lo
s_addc_u32 s57, s57, 0x0                           // add hi
s_lshr_b64 s[56:57], s[56:57], 0x21                // tmp1 = (dividend * magic) << shift
s_mov_b32 s55, s56                                 // quotient
s_mul_i32 s56, s55, 0x120                          // quotient*divisor
s_sub_u32 s54, s[sgprSizeI], s56                   // rReg = dividend - quotient*divisor
s_add_u32 s55, -0x1, s[sgprNumWorkGroups0]         // 
s_cmp_ge_u32 s[sgprWorkGroup0], s55                // wg0 >= nwg0-1 ?
s_cselect_b32 s54, s54, 0                          // set rMT0
s_cmpk_gt_u32 s54, 0x0                             // rMT0 > 0
s_cbranch_scc1 GW_B1_E1_45                         // jump if edges required
s_and_b32 s54, 127, s[sgprSizeJ]                   // s54 = s[sgprSizeJ] % 128
s_add_u32 s55, -0x1, s[sgprNumWorkGroups1]         // 
s_cmp_ge_u32 s[sgprWorkGroup1], s55                // wg1 >= nwg1-1
s_cselect_b32 s54, s54, 0                          // set rMT1
s_cmpk_gt_u32 s54, 0x0                             // rMT1 > 0
s_cbranch_scc1 GW_B1_E1_45                         // jump if edges required
GW_B1_E0_42:

/* edge=0, allocate 2 sgpr. perBatchTmpS=2 perBatchMaskS=0 perElementMaskS=0 elementsPerBatch=29 */
/* optSingleColVgpr=1 optSharedColVgpr=0 optSGPRUsage=BufferLoad_Mask optSrdIncForRow=1 */

/******************************************/
/* Global Write Alpha Beta Batch #0 (d1,d0,vc1,vc0) = */
/*    (0,0,0,0:vw4); (0,1,0,0:vw4); (0,2,0,0:vw4); (0,3,0,0:vw4); (0,4,0,0:vw4); (0,5,0,0:vw4); (0,6,0,0:vw4); (0,7,0,0:vw4); (0,8,0,0:vw4); (0,9,0,0:vw4); (0,10,0,0:vw4); (0,11,0,0:vw4); (0,12,0,0:vw4); (0,13,0,0:vw4); (0,14,0,0:vw4); (0,15,0,0:vw4); (0,16,0,0:vw4); (0,17,0,0:vw4); (0,18,0,0:vw4); (0,19,0,0:vw4); (0,20,0,0:vw4); (0,21,0,0:vw4); (0,22,0,0:vw4); (0,23,0,0:vw4); (0,24,0,0:vw4); (0,25,0,0:vw4); (0,26,0,0:vw4); (0,27,0,0:vw4); (0,28,0,0:vw4) */
/******************************************/

/* calc coords, apply mask, and issue loads (if necessary) */
/* (d1,vc1,d0,vc0)=(0,0,0,0) */
_v_add_lshl_u32 v7, v2, v0, 0x2                    // optSingleColVgpr scaleToBpe: sharedAddrVgpr <- cinRowPtr + coord0, scaled by BPE. BSHERE:coord0=0, coord0Vgpr=0
_buffer_load_b128 v[8:11], v7, s[sgprSrdC:sgprSrdC+3], 0, offen offset:0 // load C for beta calc
/* (d1,vc1,d0,vc0)=(0,0,1,0) */
_buffer_load_b128 v[16:19], v7, s[sgprSrdC:sgprSrdC+3], 0, offen offset:32 // load C for beta calc
/* (d1,vc1,d0,vc0)=(0,0,2,0) */
	;; [unrolled: 2-line block ×28, first 2 shown]
_buffer_load_b128 v[240:243], v7, s[sgprSrdC:sgprSrdC+3], 0, offen offset:896 // load C for beta calc
_v_add_lshl_u32 v6, v3, v0, 0x2                    // optSingleColVgpr scaleToBpe: sharedAddrVgpr <- cinRowPtr + coord0, scaled by BPE. BSHERE:coord0=0, coord0Vgpr=0
v_accvgpr_read_b32 v[vgprValuC+12], acc0 // copy acc to vreg[0]
v_accvgpr_read_b32 v[vgprValuC+13], acc1 // copy acc to vreg[1]
v_accvgpr_read_b32 v[vgprValuC+14], acc2 // copy acc to vreg[2]
v_accvgpr_read_b32 v[vgprValuC+15], acc3 // copy acc to vreg[3]
v_accvgpr_read_b32 v[vgprValuC+20], acc4 // copy acc to vreg[4]
v_accvgpr_read_b32 v[vgprValuC+21], acc5 // copy acc to vreg[5]
v_accvgpr_read_b32 v[vgprValuC+22], acc6 // copy acc to vreg[6]
v_accvgpr_read_b32 v[vgprValuC+23], acc7 // copy acc to vreg[7]
v_accvgpr_read_b32 v[vgprValuC+28], acc8 // copy acc to vreg[8]
v_accvgpr_read_b32 v[vgprValuC+29], acc9 // copy acc to vreg[9]
v_accvgpr_read_b32 v[vgprValuC+30], acc10 // copy acc to vreg[10]
v_accvgpr_read_b32 v[vgprValuC+31], acc11 // copy acc to vreg[11]
v_accvgpr_read_b32 v[vgprValuC+44], acc12 // copy acc to vreg[12]
v_accvgpr_read_b32 v[vgprValuC+45], acc13 // copy acc to vreg[13]
v_accvgpr_read_b32 v[vgprValuC+46], acc14 // copy acc to vreg[14]
v_accvgpr_read_b32 v[vgprValuC+47], acc15 // copy acc to vreg[15]
v_accvgpr_read_b32 v[vgprValuC+52], acc16 // copy acc to vreg[16]
v_accvgpr_read_b32 v[vgprValuC+53], acc17 // copy acc to vreg[17]
v_accvgpr_read_b32 v[vgprValuC+54], acc18 // copy acc to vreg[18]
v_accvgpr_read_b32 v[vgprValuC+55], acc19 // copy acc to vreg[19]
v_accvgpr_read_b32 v[vgprValuC+60], acc20 // copy acc to vreg[20]
v_accvgpr_read_b32 v[vgprValuC+61], acc21 // copy acc to vreg[21]
v_accvgpr_read_b32 v[vgprValuC+62], acc22 // copy acc to vreg[22]
v_accvgpr_read_b32 v[vgprValuC+63], acc23 // copy acc to vreg[23]
v_accvgpr_read_b32 v[vgprValuC+68], acc24 // copy acc to vreg[24]
v_accvgpr_read_b32 v[vgprValuC+69], acc25 // copy acc to vreg[25]
v_accvgpr_read_b32 v[vgprValuC+70], acc26 // copy acc to vreg[26]
v_accvgpr_read_b32 v[vgprValuC+71], acc27 // copy acc to vreg[27]
v_accvgpr_read_b32 v[vgprValuC+76], acc28 // copy acc to vreg[28]
v_accvgpr_read_b32 v[vgprValuC+77], acc29 // copy acc to vreg[29]
v_accvgpr_read_b32 v[vgprValuC+78], acc30 // copy acc to vreg[30]
v_accvgpr_read_b32 v[vgprValuC+79], acc31 // copy acc to vreg[31]
v_accvgpr_read_b32 v[vgprValuC+84], acc32 // copy acc to vreg[32]
v_accvgpr_read_b32 v[vgprValuC+85], acc33 // copy acc to vreg[33]
v_accvgpr_read_b32 v[vgprValuC+86], acc34 // copy acc to vreg[34]
v_accvgpr_read_b32 v[vgprValuC+87], acc35 // copy acc to vreg[35]
v_accvgpr_read_b32 v[vgprValuC+92], acc36 // copy acc to vreg[36]
v_accvgpr_read_b32 v[vgprValuC+93], acc37 // copy acc to vreg[37]
v_accvgpr_read_b32 v[vgprValuC+94], acc38 // copy acc to vreg[38]
v_accvgpr_read_b32 v[vgprValuC+95], acc39 // copy acc to vreg[39]
v_accvgpr_read_b32 v[vgprValuC+100], acc40 // copy acc to vreg[40]
v_accvgpr_read_b32 v[vgprValuC+101], acc41 // copy acc to vreg[41]
v_accvgpr_read_b32 v[vgprValuC+102], acc42 // copy acc to vreg[42]
v_accvgpr_read_b32 v[vgprValuC+103], acc43 // copy acc to vreg[43]
v_accvgpr_read_b32 v[vgprValuC+108], acc44 // copy acc to vreg[44]
v_accvgpr_read_b32 v[vgprValuC+109], acc45 // copy acc to vreg[45]
v_accvgpr_read_b32 v[vgprValuC+110], acc46 // copy acc to vreg[46]
v_accvgpr_read_b32 v[vgprValuC+111], acc47 // copy acc to vreg[47]
v_accvgpr_read_b32 v[vgprValuC+116], acc48 // copy acc to vreg[48]
v_accvgpr_read_b32 v[vgprValuC+117], acc49 // copy acc to vreg[49]
v_accvgpr_read_b32 v[vgprValuC+118], acc50 // copy acc to vreg[50]
v_accvgpr_read_b32 v[vgprValuC+119], acc51 // copy acc to vreg[51]
v_accvgpr_read_b32 v[vgprValuC+124], acc52 // copy acc to vreg[52]
v_accvgpr_read_b32 v[vgprValuC+125], acc53 // copy acc to vreg[53]
v_accvgpr_read_b32 v[vgprValuC+126], acc54 // copy acc to vreg[54]
v_accvgpr_read_b32 v[vgprValuC+127], acc55 // copy acc to vreg[55]
v_accvgpr_read_b32 v[vgprValuC+132], acc56 // copy acc to vreg[56]
v_accvgpr_read_b32 v[vgprValuC+133], acc57 // copy acc to vreg[57]
v_accvgpr_read_b32 v[vgprValuC+134], acc58 // copy acc to vreg[58]
v_accvgpr_read_b32 v[vgprValuC+135], acc59 // copy acc to vreg[59]
v_accvgpr_read_b32 v[vgprValuC+140], acc60 // copy acc to vreg[60]
v_accvgpr_read_b32 v[vgprValuC+141], acc61 // copy acc to vreg[61]
v_accvgpr_read_b32 v[vgprValuC+142], acc62 // copy acc to vreg[62]
v_accvgpr_read_b32 v[vgprValuC+143], acc63 // copy acc to vreg[63]
v_accvgpr_read_b32 v[vgprValuC+148], acc64 // copy acc to vreg[64]
v_accvgpr_read_b32 v[vgprValuC+149], acc65 // copy acc to vreg[65]
v_accvgpr_read_b32 v[vgprValuC+150], acc66 // copy acc to vreg[66]
v_accvgpr_read_b32 v[vgprValuC+151], acc67 // copy acc to vreg[67]
v_accvgpr_read_b32 v[vgprValuC+156], acc68 // copy acc to vreg[68]
v_accvgpr_read_b32 v[vgprValuC+157], acc69 // copy acc to vreg[69]
v_accvgpr_read_b32 v[vgprValuC+158], acc70 // copy acc to vreg[70]
v_accvgpr_read_b32 v[vgprValuC+159], acc71 // copy acc to vreg[71]
v_accvgpr_read_b32 v[vgprValuC+164], acc72 // copy acc to vreg[72]
v_accvgpr_read_b32 v[vgprValuC+165], acc73 // copy acc to vreg[73]
v_accvgpr_read_b32 v[vgprValuC+166], acc74 // copy acc to vreg[74]
v_accvgpr_read_b32 v[vgprValuC+167], acc75 // copy acc to vreg[75]
v_accvgpr_read_b32 v[vgprValuC+172], acc76 // copy acc to vreg[76]
v_accvgpr_read_b32 v[vgprValuC+173], acc77 // copy acc to vreg[77]
v_accvgpr_read_b32 v[vgprValuC+174], acc78 // copy acc to vreg[78]
v_accvgpr_read_b32 v[vgprValuC+175], acc79 // copy acc to vreg[79]
v_accvgpr_read_b32 v[vgprValuC+180], acc80 // copy acc to vreg[80]
v_accvgpr_read_b32 v[vgprValuC+181], acc81 // copy acc to vreg[81]
v_accvgpr_read_b32 v[vgprValuC+182], acc82 // copy acc to vreg[82]
v_accvgpr_read_b32 v[vgprValuC+183], acc83 // copy acc to vreg[83]
v_accvgpr_read_b32 v[vgprValuC+188], acc84 // copy acc to vreg[84]
v_accvgpr_read_b32 v[vgprValuC+189], acc85 // copy acc to vreg[85]
v_accvgpr_read_b32 v[vgprValuC+190], acc86 // copy acc to vreg[86]
v_accvgpr_read_b32 v[vgprValuC+191], acc87 // copy acc to vreg[87]
v_accvgpr_read_b32 v[vgprValuC+196], acc88 // copy acc to vreg[88]
v_accvgpr_read_b32 v[vgprValuC+197], acc89 // copy acc to vreg[89]
v_accvgpr_read_b32 v[vgprValuC+198], acc90 // copy acc to vreg[90]
v_accvgpr_read_b32 v[vgprValuC+199], acc91 // copy acc to vreg[91]
v_accvgpr_read_b32 v[vgprValuC+204], acc92 // copy acc to vreg[92]
v_accvgpr_read_b32 v[vgprValuC+205], acc93 // copy acc to vreg[93]
v_accvgpr_read_b32 v[vgprValuC+206], acc94 // copy acc to vreg[94]
v_accvgpr_read_b32 v[vgprValuC+207], acc95 // copy acc to vreg[95]
v_accvgpr_read_b32 v[vgprValuC+212], acc96 // copy acc to vreg[96]
v_accvgpr_read_b32 v[vgprValuC+213], acc97 // copy acc to vreg[97]
v_accvgpr_read_b32 v[vgprValuC+214], acc98 // copy acc to vreg[98]
v_accvgpr_read_b32 v[vgprValuC+215], acc99 // copy acc to vreg[99]
v_accvgpr_read_b32 v[vgprValuC+220], acc100 // copy acc to vreg[100]
v_accvgpr_read_b32 v[vgprValuC+221], acc101 // copy acc to vreg[101]
v_accvgpr_read_b32 v[vgprValuC+222], acc102 // copy acc to vreg[102]
v_accvgpr_read_b32 v[vgprValuC+223], acc103 // copy acc to vreg[103]
v_accvgpr_read_b32 v[vgprValuC+228], acc104 // copy acc to vreg[104]
v_accvgpr_read_b32 v[vgprValuC+229], acc105 // copy acc to vreg[105]
v_accvgpr_read_b32 v[vgprValuC+230], acc106 // copy acc to vreg[106]
v_accvgpr_read_b32 v[vgprValuC+231], acc107 // copy acc to vreg[107]
v_accvgpr_read_b32 v[vgprValuC+236], acc108 // copy acc to vreg[108]
v_accvgpr_read_b32 v[vgprValuC+237], acc109 // copy acc to vreg[109]
v_accvgpr_read_b32 v[vgprValuC+238], acc110 // copy acc to vreg[110]
v_accvgpr_read_b32 v[vgprValuC+239], acc111 // copy acc to vreg[111]
v_accvgpr_read_b32 v[vgprValuC+244], acc112 // copy acc to vreg[112]
v_accvgpr_read_b32 v[vgprValuC+245], acc113 // copy acc to vreg[113]
v_accvgpr_read_b32 v[vgprValuC+246], acc114 // copy acc to vreg[114]
v_accvgpr_read_b32 v[vgprValuC+247], acc115 // copy acc to vreg[115]
s_nop 1                                            // 2 wait states required before reading vgpr

/* rC *= alpha batchElements=[(0, 0, 0, 0), (0, 1, 0, 0), (0, 2, 0, 0), (0, 3, 0, 0), (0, 4, 0, 0), (0, 5, 0, 0), (0, 6, 0, 0), (0, 7, 0, 0), (0, 8, 0, 0), (0, 9, 0, 0), (0, 10, 0, 0), (0, 11, 0, 0), (0, 12, 0, 0), (0, 13, 0, 0), (0, 14, 0, 0), (0, 15, 0, 0), (0, 16, 0, 0), (0, 17, 0, 0), (0, 18, 0, 0), (0, 19, 0, 0), (0, 20, 0, 0), (0, 21, 0, 0), (0, 22, 0, 0), (0, 23, 0, 0), (0, 24, 0, 0), (0, 25, 0, 0), (0, 26, 0, 0), (0, 27, 0, 0), (0, 28, 0, 0)] */
v_mul_f32 v[vgprValuC+12], s[sgprAlpha], v[vgprValuC+12] // *= alpha
v_mul_f32 v[vgprValuC+13], s[sgprAlpha], v[vgprValuC+13] // *= alpha
	;; [unrolled: 1-line block ×116, first 2 shown]

/* apply mask, calc new C and issue writes */

s_waitcnt vmcnt(28)                                // wait C (interleaved) 28 = 29 - 0 + 0 - 1
_v_mac_f32 v[vgprValuC+12], v8, s[sgprBeta]        // finalSum = sum*alpha + C*beta
_v_mac_f32 v[vgprValuC+13], v9, s[sgprBeta]        // finalSum = sum*alpha + C*beta
_v_mac_f32 v[vgprValuC+14], v10, s[sgprBeta]       // finalSum = sum*alpha + C*beta
_v_mac_f32 v[vgprValuC+15], v11, s[sgprBeta]       // finalSum = sum*alpha + C*beta
_buffer_store_b128 v[12:15], v6, s[sgprSrdD:sgprSrdD+3], 0, offen, offset:0 // store D

s_waitcnt vmcnt(28)                                // wait C (interleaved) 28 = 29 - 1 + 1 - 1
_v_mac_f32 v[vgprValuC+20], v16, s[sgprBeta]       // finalSum = sum*alpha + C*beta
_v_mac_f32 v[vgprValuC+21], v17, s[sgprBeta]       // finalSum = sum*alpha + C*beta
_v_mac_f32 v[vgprValuC+22], v18, s[sgprBeta]       // finalSum = sum*alpha + C*beta
_v_mac_f32 v[vgprValuC+23], v19, s[sgprBeta]       // finalSum = sum*alpha + C*beta
_buffer_store_b128 v[20:23], v6, s[sgprSrdD:sgprSrdD+3], 0, offen, offset:32 // store D

s_waitcnt vmcnt(28)                                // wait C (interleaved) 28 = 29 - 2 + 2 - 1
_v_mac_f32 v[vgprValuC+28], v24, s[sgprBeta]       // finalSum = sum*alpha + C*beta
_v_mac_f32 v[vgprValuC+29], v25, s[sgprBeta]       // finalSum = sum*alpha + C*beta
_v_mac_f32 v[vgprValuC+30], v26, s[sgprBeta]       // finalSum = sum*alpha + C*beta
_v_mac_f32 v[vgprValuC+31], v27, s[sgprBeta]       // finalSum = sum*alpha + C*beta
_buffer_store_b128 v[28:31], v6, s[sgprSrdD:sgprSrdD+3], 0, offen, offset:64 // store D

s_waitcnt vmcnt(28)                                // wait C (interleaved) 28 = 29 - 3 + 3 - 1
_v_mac_f32 v[vgprValuC+44], v32, s[sgprBeta]       // finalSum = sum*alpha + C*beta
_v_mac_f32 v[vgprValuC+45], v33, s[sgprBeta]       // finalSum = sum*alpha + C*beta
_v_mac_f32 v[vgprValuC+46], v34, s[sgprBeta]       // finalSum = sum*alpha + C*beta
_v_mac_f32 v[vgprValuC+47], v35, s[sgprBeta]       // finalSum = sum*alpha + C*beta
_buffer_store_b128 v[44:47], v6, s[sgprSrdD:sgprSrdD+3], 0, offen, offset:96 // store D

s_waitcnt vmcnt(28)                                // wait C (interleaved) 28 = 29 - 4 + 4 - 1
_v_mac_f32 v[vgprValuC+52], v48, s[sgprBeta]       // finalSum = sum*alpha + C*beta
_v_mac_f32 v[vgprValuC+53], v49, s[sgprBeta]       // finalSum = sum*alpha + C*beta
_v_mac_f32 v[vgprValuC+54], v50, s[sgprBeta]       // finalSum = sum*alpha + C*beta
_v_mac_f32 v[vgprValuC+55], v51, s[sgprBeta]       // finalSum = sum*alpha + C*beta
_buffer_store_b128 v[52:55], v6, s[sgprSrdD:sgprSrdD+3], 0, offen, offset:128 // store D

s_waitcnt vmcnt(28)                                // wait C (interleaved) 28 = 29 - 5 + 5 - 1
_v_mac_f32 v[vgprValuC+60], v56, s[sgprBeta]       // finalSum = sum*alpha + C*beta
_v_mac_f32 v[vgprValuC+61], v57, s[sgprBeta]       // finalSum = sum*alpha + C*beta
_v_mac_f32 v[vgprValuC+62], v58, s[sgprBeta]       // finalSum = sum*alpha + C*beta
_v_mac_f32 v[vgprValuC+63], v59, s[sgprBeta]       // finalSum = sum*alpha + C*beta
_buffer_store_b128 v[60:63], v6, s[sgprSrdD:sgprSrdD+3], 0, offen, offset:160 // store D

s_waitcnt vmcnt(28)                                // wait C (interleaved) 28 = 29 - 6 + 6 - 1
_v_mac_f32 v[vgprValuC+68], v64, s[sgprBeta]       // finalSum = sum*alpha + C*beta
_v_mac_f32 v[vgprValuC+69], v65, s[sgprBeta]       // finalSum = sum*alpha + C*beta
_v_mac_f32 v[vgprValuC+70], v66, s[sgprBeta]       // finalSum = sum*alpha + C*beta
_v_mac_f32 v[vgprValuC+71], v67, s[sgprBeta]       // finalSum = sum*alpha + C*beta
_buffer_store_b128 v[68:71], v6, s[sgprSrdD:sgprSrdD+3], 0, offen, offset:192 // store D

s_waitcnt vmcnt(28)                                // wait C (interleaved) 28 = 29 - 7 + 7 - 1
_v_mac_f32 v[vgprValuC+76], v72, s[sgprBeta]       // finalSum = sum*alpha + C*beta
_v_mac_f32 v[vgprValuC+77], v73, s[sgprBeta]       // finalSum = sum*alpha + C*beta
_v_mac_f32 v[vgprValuC+78], v74, s[sgprBeta]       // finalSum = sum*alpha + C*beta
_v_mac_f32 v[vgprValuC+79], v75, s[sgprBeta]       // finalSum = sum*alpha + C*beta
_buffer_store_b128 v[76:79], v6, s[sgprSrdD:sgprSrdD+3], 0, offen, offset:224 // store D

s_waitcnt vmcnt(28)                                // wait C (interleaved) 28 = 29 - 8 + 8 - 1
_v_mac_f32 v[vgprValuC+84], v80, s[sgprBeta]       // finalSum = sum*alpha + C*beta
_v_mac_f32 v[vgprValuC+85], v81, s[sgprBeta]       // finalSum = sum*alpha + C*beta
_v_mac_f32 v[vgprValuC+86], v82, s[sgprBeta]       // finalSum = sum*alpha + C*beta
_v_mac_f32 v[vgprValuC+87], v83, s[sgprBeta]       // finalSum = sum*alpha + C*beta
_buffer_store_b128 v[84:87], v6, s[sgprSrdD:sgprSrdD+3], 0, offen, offset:256 // store D

s_waitcnt vmcnt(28)                                // wait C (interleaved) 28 = 29 - 9 + 9 - 1
_v_mac_f32 v[vgprValuC+92], v88, s[sgprBeta]       // finalSum = sum*alpha + C*beta
_v_mac_f32 v[vgprValuC+93], v89, s[sgprBeta]       // finalSum = sum*alpha + C*beta
_v_mac_f32 v[vgprValuC+94], v90, s[sgprBeta]       // finalSum = sum*alpha + C*beta
_v_mac_f32 v[vgprValuC+95], v91, s[sgprBeta]       // finalSum = sum*alpha + C*beta
_buffer_store_b128 v[92:95], v6, s[sgprSrdD:sgprSrdD+3], 0, offen, offset:288 // store D

s_waitcnt vmcnt(28)                                // wait C (interleaved) 28 = 29 - 10 + 10 - 1
_v_mac_f32 v[vgprValuC+100], v96, s[sgprBeta]      // finalSum = sum*alpha + C*beta
_v_mac_f32 v[vgprValuC+101], v97, s[sgprBeta]      // finalSum = sum*alpha + C*beta
	;; [unrolled: 1-line block ×4, first 2 shown]
_buffer_store_b128 v[100:103], v6, s[sgprSrdD:sgprSrdD+3], 0, offen, offset:320 // store D

s_waitcnt vmcnt(28)                                // wait C (interleaved) 28 = 29 - 11 + 11 - 1
_v_mac_f32 v[vgprValuC+108], v104, s[sgprBeta]     // finalSum = sum*alpha + C*beta
_v_mac_f32 v[vgprValuC+109], v105, s[sgprBeta]     // finalSum = sum*alpha + C*beta
_v_mac_f32 v[vgprValuC+110], v106, s[sgprBeta]     // finalSum = sum*alpha + C*beta
_v_mac_f32 v[vgprValuC+111], v107, s[sgprBeta]     // finalSum = sum*alpha + C*beta
_buffer_store_b128 v[108:111], v6, s[sgprSrdD:sgprSrdD+3], 0, offen, offset:352 // store D

s_waitcnt vmcnt(28)                                // wait C (interleaved) 28 = 29 - 12 + 12 - 1
_v_mac_f32 v[vgprValuC+116], v112, s[sgprBeta]     // finalSum = sum*alpha + C*beta
_v_mac_f32 v[vgprValuC+117], v113, s[sgprBeta]     // finalSum = sum*alpha + C*beta
_v_mac_f32 v[vgprValuC+118], v114, s[sgprBeta]     // finalSum = sum*alpha + C*beta
_v_mac_f32 v[vgprValuC+119], v115, s[sgprBeta]     // finalSum = sum*alpha + C*beta
	;; [unrolled: 7-line block ×18, first 2 shown]
_buffer_store_b128 v[244:247], v6, s[sgprSrdD:sgprSrdD+3], 0, offen, offset:896 // store D
s_nop 0                                            // 1 wait state required when next inst writes vgprs held by previous dwordx4 store inst
/* optSingleColVgpr=1 optSharedColVgpr=0 optSGPRUsage=BufferLoad_Mask optSrdIncForRow=1 */

/******************************************/
/* Global Write Alpha Beta Batch #1 (d1,d0,vc1,vc0) = */
/*    (0,29,0,0:vw4); (0,30,0,0:vw4); (0,31,0,0:vw4); (0,32,0,0:vw4); (0,33,0,0:vw4); (0,34,0,0:vw4); (0,35,0,0:vw4) */
/******************************************/

/* calc coords, apply mask, and issue loads (if necessary) */
/* (d1,vc1,d0,vc0)=(0,0,29,0) */
_buffer_load_b128 v[8:11], v7, s[sgprSrdC:sgprSrdC+3], 0, offen offset:928 // load C for beta calc
/* (d1,vc1,d0,vc0)=(0,0,30,0) */
_buffer_load_b128 v[16:19], v7, s[sgprSrdC:sgprSrdC+3], 0, offen offset:960 // load C for beta calc
	;; [unrolled: 2-line block ×7, first 2 shown]
v_accvgpr_read_b32 v[vgprValuC+12], acc116 // copy acc to vreg[116]
v_accvgpr_read_b32 v[vgprValuC+13], acc117 // copy acc to vreg[117]
v_accvgpr_read_b32 v[vgprValuC+14], acc118 // copy acc to vreg[118]
v_accvgpr_read_b32 v[vgprValuC+15], acc119 // copy acc to vreg[119]
v_accvgpr_read_b32 v[vgprValuC+20], acc120 // copy acc to vreg[120]
v_accvgpr_read_b32 v[vgprValuC+21], acc121 // copy acc to vreg[121]
v_accvgpr_read_b32 v[vgprValuC+22], acc122 // copy acc to vreg[122]
v_accvgpr_read_b32 v[vgprValuC+23], acc123 // copy acc to vreg[123]
v_accvgpr_read_b32 v[vgprValuC+28], acc124 // copy acc to vreg[124]
v_accvgpr_read_b32 v[vgprValuC+29], acc125 // copy acc to vreg[125]
v_accvgpr_read_b32 v[vgprValuC+30], acc126 // copy acc to vreg[126]
v_accvgpr_read_b32 v[vgprValuC+31], acc127 // copy acc to vreg[127]
v_accvgpr_read_b32 v[vgprValuC+44], acc128 // copy acc to vreg[128]
v_accvgpr_read_b32 v[vgprValuC+45], acc129 // copy acc to vreg[129]
v_accvgpr_read_b32 v[vgprValuC+46], acc130 // copy acc to vreg[130]
v_accvgpr_read_b32 v[vgprValuC+47], acc131 // copy acc to vreg[131]
v_accvgpr_read_b32 v[vgprValuC+52], acc132 // copy acc to vreg[132]
v_accvgpr_read_b32 v[vgprValuC+53], acc133 // copy acc to vreg[133]
v_accvgpr_read_b32 v[vgprValuC+54], acc134 // copy acc to vreg[134]
v_accvgpr_read_b32 v[vgprValuC+55], acc135 // copy acc to vreg[135]
v_accvgpr_read_b32 v[vgprValuC+60], acc136 // copy acc to vreg[136]
v_accvgpr_read_b32 v[vgprValuC+61], acc137 // copy acc to vreg[137]
v_accvgpr_read_b32 v[vgprValuC+62], acc138 // copy acc to vreg[138]
v_accvgpr_read_b32 v[vgprValuC+63], acc139 // copy acc to vreg[139]
v_accvgpr_read_b32 v[vgprValuC+68], acc140 // copy acc to vreg[140]
v_accvgpr_read_b32 v[vgprValuC+69], acc141 // copy acc to vreg[141]
v_accvgpr_read_b32 v[vgprValuC+70], acc142 // copy acc to vreg[142]
v_accvgpr_read_b32 v[vgprValuC+71], acc143 // copy acc to vreg[143]
s_nop 1                                            // 2 wait states required before reading vgpr

/* rC *= alpha batchElements=[(0, 29, 0, 0), (0, 30, 0, 0), (0, 31, 0, 0), (0, 32, 0, 0), (0, 33, 0, 0), (0, 34, 0, 0), (0, 35, 0, 0)] */
v_mul_f32 v[vgprValuC+12], s[sgprAlpha], v[vgprValuC+12] // *= alpha
v_mul_f32 v[vgprValuC+13], s[sgprAlpha], v[vgprValuC+13] // *= alpha
v_mul_f32 v[vgprValuC+14], s[sgprAlpha], v[vgprValuC+14] // *= alpha
v_mul_f32 v[vgprValuC+15], s[sgprAlpha], v[vgprValuC+15] // *= alpha
v_mul_f32 v[vgprValuC+20], s[sgprAlpha], v[vgprValuC+20] // *= alpha
v_mul_f32 v[vgprValuC+21], s[sgprAlpha], v[vgprValuC+21] // *= alpha
v_mul_f32 v[vgprValuC+22], s[sgprAlpha], v[vgprValuC+22] // *= alpha
v_mul_f32 v[vgprValuC+23], s[sgprAlpha], v[vgprValuC+23] // *= alpha
v_mul_f32 v[vgprValuC+28], s[sgprAlpha], v[vgprValuC+28] // *= alpha
v_mul_f32 v[vgprValuC+29], s[sgprAlpha], v[vgprValuC+29] // *= alpha
v_mul_f32 v[vgprValuC+30], s[sgprAlpha], v[vgprValuC+30] // *= alpha
v_mul_f32 v[vgprValuC+31], s[sgprAlpha], v[vgprValuC+31] // *= alpha
v_mul_f32 v[vgprValuC+44], s[sgprAlpha], v[vgprValuC+44] // *= alpha
v_mul_f32 v[vgprValuC+45], s[sgprAlpha], v[vgprValuC+45] // *= alpha
v_mul_f32 v[vgprValuC+46], s[sgprAlpha], v[vgprValuC+46] // *= alpha
v_mul_f32 v[vgprValuC+47], s[sgprAlpha], v[vgprValuC+47] // *= alpha
v_mul_f32 v[vgprValuC+52], s[sgprAlpha], v[vgprValuC+52] // *= alpha
v_mul_f32 v[vgprValuC+53], s[sgprAlpha], v[vgprValuC+53] // *= alpha
v_mul_f32 v[vgprValuC+54], s[sgprAlpha], v[vgprValuC+54] // *= alpha
v_mul_f32 v[vgprValuC+55], s[sgprAlpha], v[vgprValuC+55] // *= alpha
v_mul_f32 v[vgprValuC+60], s[sgprAlpha], v[vgprValuC+60] // *= alpha
v_mul_f32 v[vgprValuC+61], s[sgprAlpha], v[vgprValuC+61] // *= alpha
v_mul_f32 v[vgprValuC+62], s[sgprAlpha], v[vgprValuC+62] // *= alpha
v_mul_f32 v[vgprValuC+63], s[sgprAlpha], v[vgprValuC+63] // *= alpha
v_mul_f32 v[vgprValuC+68], s[sgprAlpha], v[vgprValuC+68] // *= alpha
v_mul_f32 v[vgprValuC+69], s[sgprAlpha], v[vgprValuC+69] // *= alpha
v_mul_f32 v[vgprValuC+70], s[sgprAlpha], v[vgprValuC+70] // *= alpha
v_mul_f32 v[vgprValuC+71], s[sgprAlpha], v[vgprValuC+71] // *= alpha

/* apply mask, calc new C and issue writes */

s_waitcnt vmcnt(6)                                 // wait C (interleaved) 6 = 7 - 0 + 0 - 1
_v_mac_f32 v[vgprValuC+12], v8, s[sgprBeta]        // finalSum = sum*alpha + C*beta
_v_mac_f32 v[vgprValuC+13], v9, s[sgprBeta]        // finalSum = sum*alpha + C*beta
_v_mac_f32 v[vgprValuC+14], v10, s[sgprBeta]       // finalSum = sum*alpha + C*beta
_v_mac_f32 v[vgprValuC+15], v11, s[sgprBeta]       // finalSum = sum*alpha + C*beta
_buffer_store_b128 v[12:15], v6, s[sgprSrdD:sgprSrdD+3], 0, offen, offset:928 // store D

s_waitcnt vmcnt(6)                                 // wait C (interleaved) 6 = 7 - 1 + 1 - 1
_v_mac_f32 v[vgprValuC+20], v16, s[sgprBeta]       // finalSum = sum*alpha + C*beta
_v_mac_f32 v[vgprValuC+21], v17, s[sgprBeta]       // finalSum = sum*alpha + C*beta
_v_mac_f32 v[vgprValuC+22], v18, s[sgprBeta]       // finalSum = sum*alpha + C*beta
_v_mac_f32 v[vgprValuC+23], v19, s[sgprBeta]       // finalSum = sum*alpha + C*beta
_buffer_store_b128 v[20:23], v6, s[sgprSrdD:sgprSrdD+3], 0, offen, offset:960 // store D

s_waitcnt vmcnt(6)                                 // wait C (interleaved) 6 = 7 - 2 + 2 - 1
_v_mac_f32 v[vgprValuC+28], v24, s[sgprBeta]       // finalSum = sum*alpha + C*beta
_v_mac_f32 v[vgprValuC+29], v25, s[sgprBeta]       // finalSum = sum*alpha + C*beta
	;; [unrolled: 7-line block ×6, first 2 shown]
_v_mac_f32 v[vgprValuC+70], v66, s[sgprBeta]       // finalSum = sum*alpha + C*beta
_v_mac_f32 v[vgprValuC+71], v67, s[sgprBeta]       // finalSum = sum*alpha + C*beta
_buffer_store_b128 v[68:71], v6, s[sgprSrdD:sgprSrdD+3], 0, offen, offset:1120 // store D
s_nop 0                                            // 1 wait state required when next inst writes vgprs held by previous dwordx4 store inst
s_branch label_GW_End_46                           // jump to end
GW_B1_E1_45:

/* edge=1, allocate 6 sgpr. perBatchTmpS=4 perBatchMaskS=2 perElementMaskS=0 elementsPerBatch=81 */
/* optSingleColVgpr=0 optSharedColVgpr=0 optSGPRUsage=BufferLoad_Edge_Mask optSrdIncForRow=0 */

/******************************************/
/* Global Write Alpha Beta Edge Batch #0 (d1,d0,vc1,vc0) = */
/*    (0,0,0,0:vw1); (0,0,0,1:vw1); (0,0,0,2:vw1); (0,0,0,3:vw1); (0,1,0,0:vw1); (0,1,0,1:vw1); (0,1,0,2:vw1); (0,1,0,3:vw1); (0,2,0,0:vw1); (0,2,0,1:vw1); (0,2,0,2:vw1); (0,2,0,3:vw1); (0,3,0,0:vw1); (0,3,0,1:vw1); (0,3,0,2:vw1); (0,3,0,3:vw1); (0,4,0,0:vw1); (0,4,0,1:vw1); (0,4,0,2:vw1); (0,4,0,3:vw1); (0,5,0,0:vw1); (0,5,0,1:vw1); (0,5,0,2:vw1); (0,5,0,3:vw1); (0,6,0,0:vw1); (0,6,0,1:vw1); (0,6,0,2:vw1); (0,6,0,3:vw1); (0,7,0,0:vw1); (0,7,0,1:vw1); (0,7,0,2:vw1); (0,7,0,3:vw1); (0,8,0,0:vw1); (0,8,0,1:vw1); (0,8,0,2:vw1); (0,8,0,3:vw1); (0,9,0,0:vw1); (0,9,0,1:vw1); (0,9,0,2:vw1); (0,9,0,3:vw1); (0,10,0,0:vw1); (0,10,0,1:vw1); (0,10,0,2:vw1); (0,10,0,3:vw1); (0,11,0,0:vw1); (0,11,0,1:vw1); (0,11,0,2:vw1); (0,11,0,3:vw1); (0,12,0,0:vw1); (0,12,0,1:vw1); (0,12,0,2:vw1); (0,12,0,3:vw1); (0,13,0,0:vw1); (0,13,0,1:vw1); (0,13,0,2:vw1); (0,13,0,3:vw1); (0,14,0,0:vw1); (0,14,0,1:vw1); (0,14,0,2:vw1); (0,14,0,3:vw1); (0,15,0,0:vw1); (0,15,0,1:vw1); (0,15,0,2:vw1); (0,15,0,3:vw1); (0,16,0,0:vw1); (0,16,0,1:vw1); (0,16,0,2:vw1); (0,16,0,3:vw1); (0,17,0,0:vw1); (0,17,0,1:vw1); (0,17,0,2:vw1); (0,17,0,3:vw1); (0,18,0,0:vw1); (0,18,0,1:vw1); (0,18,0,2:vw1); (0,18,0,3:vw1); (0,19,0,0:vw1); (0,19,0,1:vw1); (0,19,0,2:vw1); (0,19,0,3:vw1); (0,20,0,0:vw1) */
/******************************************/

/* calc coords, apply mask, and issue loads (if necessary) */
/* (d1,vc1,d0,vc0)=(0,0,0,0) */
v_cmp_lt_u32 s[54:55], v0, s[sgprSizeI]            // coord0 < size0
v_cmp_lt_u32 s[58:59], v1, s[sgprSizeJ]            // coord1 < size1
s_and_b64 s[58:59], s[54:55], s[58:59]             // in0 && in1
_v_add_lshl_u32 v6, v2, v0, 0x2                    // scaleToBpe: accumulate d0 lower and *= bpe into Cin addr
v_cndmask_b32 v6, -1, v6, s[58:59]                 // LDC clip if OOB. offset
_buffer_load_b32 v7, v6, s[sgprSrdC:sgprSrdC+3], 0, offen offset:0 // load C for beta calc
_v_add_lshl_u32 v6, v3, v0, 0x2                    // scaleToBpe: accumulate d0 lower and *= bpe into Cin addr
v_cndmask_b32 v6, -1, v6, s[58:59]                 // LDD clip if OOB. offset
/* (d1,vc1,d0,vc0)=(0,0,0,1) */
_v_add_co_u32 v4, vcc, v0, 1                       // coord0.1: coord0 += d0*sg0*VW + vc0
v_cmp_lt_u32 s[54:55], v4, s[sgprSizeI]            // coord0 < size0
v_cmp_lt_u32 s[58:59], v1, s[sgprSizeJ]            // coord1 < size1
s_and_b64 s[58:59], s[54:55], s[58:59]             // in0 && in1
_v_add_lshl_u32 v9, v2, v4, 0x2                    // scaleToBpe: accumulate d0 lower and *= bpe into Cin addr
v_cndmask_b32 v9, -1, v9, s[58:59]                 // LDC clip if OOB. offset
_buffer_load_b32 v10, v9, s[sgprSrdC:sgprSrdC+3], 0, offen offset:0 // load C for beta calc
_v_add_lshl_u32 v9, v3, v4, 0x2                    // scaleToBpe: accumulate d0 lower and *= bpe into Cin addr
v_cndmask_b32 v9, -1, v9, s[58:59]                 // LDD clip if OOB. offset
/* (d1,vc1,d0,vc0)=(0,0,0,2) */
_v_add_co_u32 v4, vcc, v0, 2                       // coord0.1: coord0 += d0*sg0*VW + vc0
v_cmp_lt_u32 s[54:55], v4, s[sgprSizeI]            // coord0 < size0
v_cmp_lt_u32 s[58:59], v1, s[sgprSizeJ]            // coord1 < size1
s_and_b64 s[58:59], s[54:55], s[58:59]             // in0 && in1
_v_add_lshl_u32 v12, v2, v4, 0x2                   // scaleToBpe: accumulate d0 lower and *= bpe into Cin addr
v_cndmask_b32 v12, -1, v12, s[58:59]               // LDC clip if OOB. offset
_buffer_load_b32 v13, v12, s[sgprSrdC:sgprSrdC+3], 0, offen offset:0 // load C for beta calc
_v_add_lshl_u32 v12, v3, v4, 0x2                   // scaleToBpe: accumulate d0 lower and *= bpe into Cin addr
v_cndmask_b32 v12, -1, v12, s[58:59]               // LDD clip if OOB. offset
/* (d1,vc1,d0,vc0)=(0,0,0,3) */
_v_add_co_u32 v4, vcc, v0, 3                       // coord0.1: coord0 += d0*sg0*VW + vc0
v_cmp_lt_u32 s[54:55], v4, s[sgprSizeI]            // coord0 < size0
v_cmp_lt_u32 s[58:59], v1, s[sgprSizeJ]            // coord1 < size1
s_and_b64 s[58:59], s[54:55], s[58:59]             // in0 && in1
_v_add_lshl_u32 v15, v2, v4, 0x2                   // scaleToBpe: accumulate d0 lower and *= bpe into Cin addr
v_cndmask_b32 v15, -1, v15, s[58:59]               // LDC clip if OOB. offset
_buffer_load_b32 v16, v15, s[sgprSrdC:sgprSrdC+3], 0, offen offset:0 // load C for beta calc
_v_add_lshl_u32 v15, v3, v4, 0x2                   // scaleToBpe: accumulate d0 lower and *= bpe into Cin addr
v_cndmask_b32 v15, -1, v15, s[58:59]               // LDD clip if OOB. offset
	;; [unrolled: 10-line block ×4, first 2 shown]
/* (d1,vc1,d0,vc0)=(0,0,1,2) */
_v_add_co_u32 v4, vcc, v0, 10                      // coord0.1: coord0 += d0*sg0*VW + vc0
v_cmp_lt_u32 s[54:55], v4, s[sgprSizeI]            // coord0 < size0
v_cmp_lt_u32 s[58:59], v1, s[sgprSizeJ]            // coord1 < size1
s_and_b64 s[58:59], s[54:55], s[58:59]             // in0 && in1
_v_add_lshl_u32 v24, v2, v4, 0x2                   // scaleToBpe: accumulate d0 lower and *= bpe into Cin addr
v_cndmask_b32 v24, -1, v24, s[58:59]               // LDC clip if OOB. offset
_buffer_load_b32 v25, v24, s[sgprSrdC:sgprSrdC+3], 0, offen offset:0 // load C for beta calc
_v_add_lshl_u32 v24, v3, v4, 0x2                   // scaleToBpe: accumulate d0 lower and *= bpe into Cin addr
v_cndmask_b32 v24, -1, v24, s[58:59]               // LDD clip if OOB. offset
/* (d1,vc1,d0,vc0)=(0,0,1,3) */
_v_add_co_u32 v4, vcc, v0, 11                      // coord0.1: coord0 += d0*sg0*VW + vc0
v_cmp_lt_u32 s[54:55], v4, s[sgprSizeI]            // coord0 < size0
v_cmp_lt_u32 s[58:59], v1, s[sgprSizeJ]            // coord1 < size1
s_and_b64 s[58:59], s[54:55], s[58:59]             // in0 && in1
_v_add_lshl_u32 v27, v2, v4, 0x2                   // scaleToBpe: accumulate d0 lower and *= bpe into Cin addr
v_cndmask_b32 v27, -1, v27, s[58:59]               // LDC clip if OOB. offset
_buffer_load_b32 v28, v27, s[sgprSrdC:sgprSrdC+3], 0, offen offset:0 // load C for beta calc
_v_add_lshl_u32 v27, v3, v4, 0x2                   // scaleToBpe: accumulate d0 lower and *= bpe into Cin addr
v_cndmask_b32 v27, -1, v27, s[58:59]               // LDD clip if OOB. offset
	;; [unrolled: 10-line block ×25, first 2 shown]
/* (d1,vc1,d0,vc0)=(0,0,7,3) */
_v_add_co_u32 v4, vcc, v0, 59                      // coord0.1: coord0 += d0*sg0*VW + vc0
v_cmp_lt_u32 s[54:55], v4, s[sgprSizeI]            // coord0 < size0
v_cmp_lt_u32 s[58:59], v1, s[sgprSizeJ]            // coord1 < size1
s_and_b64 s[58:59], s[54:55], s[58:59]             // in0 && in1
_v_add_lshl_u32 v102, v2, v4, 0x2                  // scaleToBpe: accumulate d0 lower and *= bpe into Cin addr
v_cndmask_b32 v102, -1, v102, s[58:59]             // LDC clip if OOB. offset
_buffer_load_b32 v103, v102, s[sgprSrdC:sgprSrdC+3], 0, offen offset:0 // load C for beta calc
_v_add_lshl_u32 v102, v3, v4, 0x2                  // scaleToBpe: accumulate d0 lower and *= bpe into Cin addr
v_cndmask_b32 v102, -1, v102, s[58:59]             // LDD clip if OOB. offset
/* (d1,vc1,d0,vc0)=(0,0,8,0) */
_v_add_co_u32 v4, vcc, v0, 64                      // coord0.1: coord0 += d0*sg0*VW + vc0
v_cmp_lt_u32 s[54:55], v4, s[sgprSizeI]            // coord0 < size0
v_cmp_lt_u32 s[58:59], v1, s[sgprSizeJ]            // coord1 < size1
s_and_b64 s[58:59], s[54:55], s[58:59]             // in0 && in1
_v_add_lshl_u32 v105, v2, v4, 0x2                  // scaleToBpe: accumulate d0 lower and *= bpe into Cin addr
v_cndmask_b32 v105, -1, v105, s[58:59]             // LDC clip if OOB. offset
_buffer_load_b32 v106, v105, s[sgprSrdC:sgprSrdC+3], 0, offen offset:0 // load C for beta calc
_v_add_lshl_u32 v105, v3, v4, 0x2                  // scaleToBpe: accumulate d0 lower and *= bpe into Cin addr
v_cndmask_b32 v105, -1, v105, s[58:59]             // LDD clip if OOB. offset
/* (d1,vc1,d0,vc0)=(0,0,8,1) */
s_mov_b32 s54, 65                                  // coordOffset0 d0=8 vc0=1
_v_add_co_u32 v4, vcc, v0, s54                     // coord0.2: coord0 += d0*sg0*VW + vc0
v_cmp_lt_u32 s[54:55], v4, s[sgprSizeI]            // coord0 < size0
v_cmp_lt_u32 s[58:59], v1, s[sgprSizeJ]            // coord1 < size1
s_and_b64 s[58:59], s[54:55], s[58:59]             // in0 && in1
_v_add_lshl_u32 v108, v2, v4, 0x2                  // scaleToBpe: accumulate d0 lower and *= bpe into Cin addr
v_cndmask_b32 v108, -1, v108, s[58:59]             // LDC clip if OOB. offset
_buffer_load_b32 v109, v108, s[sgprSrdC:sgprSrdC+3], 0, offen offset:0 // load C for beta calc
_v_add_lshl_u32 v108, v3, v4, 0x2                  // scaleToBpe: accumulate d0 lower and *= bpe into Cin addr
v_cndmask_b32 v108, -1, v108, s[58:59]             // LDD clip if OOB. offset
/* (d1,vc1,d0,vc0)=(0,0,8,2) */
s_mov_b32 s54, 66                                  // coordOffset0 d0=8 vc0=2
_v_add_co_u32 v4, vcc, v0, s54                     // coord0.2: coord0 += d0*sg0*VW + vc0
v_cmp_lt_u32 s[54:55], v4, s[sgprSizeI]            // coord0 < size0
v_cmp_lt_u32 s[58:59], v1, s[sgprSizeJ]            // coord1 < size1
s_and_b64 s[58:59], s[54:55], s[58:59]             // in0 && in1
_v_add_lshl_u32 v111, v2, v4, 0x2                  // scaleToBpe: accumulate d0 lower and *= bpe into Cin addr
v_cndmask_b32 v111, -1, v111, s[58:59]             // LDC clip if OOB. offset
_buffer_load_b32 v112, v111, s[sgprSrdC:sgprSrdC+3], 0, offen offset:0 // load C for beta calc
_v_add_lshl_u32 v111, v3, v4, 0x2                  // scaleToBpe: accumulate d0 lower and *= bpe into Cin addr
v_cndmask_b32 v111, -1, v111, s[58:59]             // LDD clip if OOB. offset
/* (d1,vc1,d0,vc0)=(0,0,8,3) */
s_mov_b32 s54, 67                                  // coordOffset0 d0=8 vc0=3
_v_add_co_u32 v4, vcc, v0, s54                     // coord0.2: coord0 += d0*sg0*VW + vc0
v_cmp_lt_u32 s[54:55], v4, s[sgprSizeI]            // coord0 < size0
v_cmp_lt_u32 s[58:59], v1, s[sgprSizeJ]            // coord1 < size1
s_and_b64 s[58:59], s[54:55], s[58:59]             // in0 && in1
_v_add_lshl_u32 v114, v2, v4, 0x2                  // scaleToBpe: accumulate d0 lower and *= bpe into Cin addr
v_cndmask_b32 v114, -1, v114, s[58:59]             // LDC clip if OOB. offset
_buffer_load_b32 v115, v114, s[sgprSrdC:sgprSrdC+3], 0, offen offset:0 // load C for beta calc
_v_add_lshl_u32 v114, v3, v4, 0x2                  // scaleToBpe: accumulate d0 lower and *= bpe into Cin addr
v_cndmask_b32 v114, -1, v114, s[58:59]             // LDD clip if OOB. offset
/* (d1,vc1,d0,vc0)=(0,0,9,0) */
s_mov_b32 s54, 72                                  // coordOffset0 d0=9 vc0=0
_v_add_co_u32 v4, vcc, v0, s54                     // coord0.2: coord0 += d0*sg0*VW + vc0
v_cmp_lt_u32 s[54:55], v4, s[sgprSizeI]            // coord0 < size0
v_cmp_lt_u32 s[58:59], v1, s[sgprSizeJ]            // coord1 < size1
s_and_b64 s[58:59], s[54:55], s[58:59]             // in0 && in1
_v_add_lshl_u32 v117, v2, v4, 0x2                  // scaleToBpe: accumulate d0 lower and *= bpe into Cin addr
v_cndmask_b32 v117, -1, v117, s[58:59]             // LDC clip if OOB. offset
_buffer_load_b32 v118, v117, s[sgprSrdC:sgprSrdC+3], 0, offen offset:0 // load C for beta calc
_v_add_lshl_u32 v117, v3, v4, 0x2                  // scaleToBpe: accumulate d0 lower and *= bpe into Cin addr
v_cndmask_b32 v117, -1, v117, s[58:59]             // LDD clip if OOB. offset
/* (d1,vc1,d0,vc0)=(0,0,9,1) */
s_mov_b32 s54, 73                                  // coordOffset0 d0=9 vc0=1
_v_add_co_u32 v4, vcc, v0, s54                     // coord0.2: coord0 += d0*sg0*VW + vc0
v_cmp_lt_u32 s[54:55], v4, s[sgprSizeI]            // coord0 < size0
v_cmp_lt_u32 s[58:59], v1, s[sgprSizeJ]            // coord1 < size1
s_and_b64 s[58:59], s[54:55], s[58:59]             // in0 && in1
_v_add_lshl_u32 v120, v2, v4, 0x2                  // scaleToBpe: accumulate d0 lower and *= bpe into Cin addr
v_cndmask_b32 v120, -1, v120, s[58:59]             // LDC clip if OOB. offset
_buffer_load_b32 v121, v120, s[sgprSrdC:sgprSrdC+3], 0, offen offset:0 // load C for beta calc
_v_add_lshl_u32 v120, v3, v4, 0x2                  // scaleToBpe: accumulate d0 lower and *= bpe into Cin addr
v_cndmask_b32 v120, -1, v120, s[58:59]             // LDD clip if OOB. offset
/* (d1,vc1,d0,vc0)=(0,0,9,2) */
s_mov_b32 s54, 74                                  // coordOffset0 d0=9 vc0=2
_v_add_co_u32 v4, vcc, v0, s54                     // coord0.2: coord0 += d0*sg0*VW + vc0
v_cmp_lt_u32 s[54:55], v4, s[sgprSizeI]            // coord0 < size0
v_cmp_lt_u32 s[58:59], v1, s[sgprSizeJ]            // coord1 < size1
s_and_b64 s[58:59], s[54:55], s[58:59]             // in0 && in1
_v_add_lshl_u32 v123, v2, v4, 0x2                  // scaleToBpe: accumulate d0 lower and *= bpe into Cin addr
v_cndmask_b32 v123, -1, v123, s[58:59]             // LDC clip if OOB. offset
_buffer_load_b32 v124, v123, s[sgprSrdC:sgprSrdC+3], 0, offen offset:0 // load C for beta calc
_v_add_lshl_u32 v123, v3, v4, 0x2                  // scaleToBpe: accumulate d0 lower and *= bpe into Cin addr
v_cndmask_b32 v123, -1, v123, s[58:59]             // LDD clip if OOB. offset
/* (d1,vc1,d0,vc0)=(0,0,9,3) */
s_mov_b32 s54, 75                                  // coordOffset0 d0=9 vc0=3
_v_add_co_u32 v4, vcc, v0, s54                     // coord0.2: coord0 += d0*sg0*VW + vc0
v_cmp_lt_u32 s[54:55], v4, s[sgprSizeI]            // coord0 < size0
v_cmp_lt_u32 s[58:59], v1, s[sgprSizeJ]            // coord1 < size1
s_and_b64 s[58:59], s[54:55], s[58:59]             // in0 && in1
_v_add_lshl_u32 v126, v2, v4, 0x2                  // scaleToBpe: accumulate d0 lower and *= bpe into Cin addr
v_cndmask_b32 v126, -1, v126, s[58:59]             // LDC clip if OOB. offset
_buffer_load_b32 v127, v126, s[sgprSrdC:sgprSrdC+3], 0, offen offset:0 // load C for beta calc
_v_add_lshl_u32 v126, v3, v4, 0x2                  // scaleToBpe: accumulate d0 lower and *= bpe into Cin addr
v_cndmask_b32 v126, -1, v126, s[58:59]             // LDD clip if OOB. offset
/* (d1,vc1,d0,vc0)=(0,0,10,0) */
s_mov_b32 s54, 80                                  // coordOffset0 d0=10 vc0=0
_v_add_co_u32 v4, vcc, v0, s54                     // coord0.2: coord0 += d0*sg0*VW + vc0
v_cmp_lt_u32 s[54:55], v4, s[sgprSizeI]            // coord0 < size0
v_cmp_lt_u32 s[58:59], v1, s[sgprSizeJ]            // coord1 < size1
s_and_b64 s[58:59], s[54:55], s[58:59]             // in0 && in1
_v_add_lshl_u32 v129, v2, v4, 0x2                  // scaleToBpe: accumulate d0 lower and *= bpe into Cin addr
v_cndmask_b32 v129, -1, v129, s[58:59]             // LDC clip if OOB. offset
_buffer_load_b32 v130, v129, s[sgprSrdC:sgprSrdC+3], 0, offen offset:0 // load C for beta calc
_v_add_lshl_u32 v129, v3, v4, 0x2                  // scaleToBpe: accumulate d0 lower and *= bpe into Cin addr
v_cndmask_b32 v129, -1, v129, s[58:59]             // LDD clip if OOB. offset
/* (d1,vc1,d0,vc0)=(0,0,10,1) */
s_mov_b32 s54, 81                                  // coordOffset0 d0=10 vc0=1
_v_add_co_u32 v4, vcc, v0, s54                     // coord0.2: coord0 += d0*sg0*VW + vc0
v_cmp_lt_u32 s[54:55], v4, s[sgprSizeI]            // coord0 < size0
v_cmp_lt_u32 s[58:59], v1, s[sgprSizeJ]            // coord1 < size1
s_and_b64 s[58:59], s[54:55], s[58:59]             // in0 && in1
_v_add_lshl_u32 v132, v2, v4, 0x2                  // scaleToBpe: accumulate d0 lower and *= bpe into Cin addr
v_cndmask_b32 v132, -1, v132, s[58:59]             // LDC clip if OOB. offset
_buffer_load_b32 v133, v132, s[sgprSrdC:sgprSrdC+3], 0, offen offset:0 // load C for beta calc
_v_add_lshl_u32 v132, v3, v4, 0x2                  // scaleToBpe: accumulate d0 lower and *= bpe into Cin addr
v_cndmask_b32 v132, -1, v132, s[58:59]             // LDD clip if OOB. offset
/* (d1,vc1,d0,vc0)=(0,0,10,2) */
s_mov_b32 s54, 82                                  // coordOffset0 d0=10 vc0=2
_v_add_co_u32 v4, vcc, v0, s54                     // coord0.2: coord0 += d0*sg0*VW + vc0
v_cmp_lt_u32 s[54:55], v4, s[sgprSizeI]            // coord0 < size0
v_cmp_lt_u32 s[58:59], v1, s[sgprSizeJ]            // coord1 < size1
s_and_b64 s[58:59], s[54:55], s[58:59]             // in0 && in1
_v_add_lshl_u32 v135, v2, v4, 0x2                  // scaleToBpe: accumulate d0 lower and *= bpe into Cin addr
v_cndmask_b32 v135, -1, v135, s[58:59]             // LDC clip if OOB. offset
_buffer_load_b32 v136, v135, s[sgprSrdC:sgprSrdC+3], 0, offen offset:0 // load C for beta calc
_v_add_lshl_u32 v135, v3, v4, 0x2                  // scaleToBpe: accumulate d0 lower and *= bpe into Cin addr
v_cndmask_b32 v135, -1, v135, s[58:59]             // LDD clip if OOB. offset
/* (d1,vc1,d0,vc0)=(0,0,10,3) */
s_mov_b32 s54, 83                                  // coordOffset0 d0=10 vc0=3
_v_add_co_u32 v4, vcc, v0, s54                     // coord0.2: coord0 += d0*sg0*VW + vc0
v_cmp_lt_u32 s[54:55], v4, s[sgprSizeI]            // coord0 < size0
v_cmp_lt_u32 s[58:59], v1, s[sgprSizeJ]            // coord1 < size1
s_and_b64 s[58:59], s[54:55], s[58:59]             // in0 && in1
_v_add_lshl_u32 v138, v2, v4, 0x2                  // scaleToBpe: accumulate d0 lower and *= bpe into Cin addr
v_cndmask_b32 v138, -1, v138, s[58:59]             // LDC clip if OOB. offset
_buffer_load_b32 v139, v138, s[sgprSrdC:sgprSrdC+3], 0, offen offset:0 // load C for beta calc
_v_add_lshl_u32 v138, v3, v4, 0x2                  // scaleToBpe: accumulate d0 lower and *= bpe into Cin addr
v_cndmask_b32 v138, -1, v138, s[58:59]             // LDD clip if OOB. offset
/* (d1,vc1,d0,vc0)=(0,0,11,0) */
s_mov_b32 s54, 88                                  // coordOffset0 d0=11 vc0=0
_v_add_co_u32 v4, vcc, v0, s54                     // coord0.2: coord0 += d0*sg0*VW + vc0
v_cmp_lt_u32 s[54:55], v4, s[sgprSizeI]            // coord0 < size0
v_cmp_lt_u32 s[58:59], v1, s[sgprSizeJ]            // coord1 < size1
s_and_b64 s[58:59], s[54:55], s[58:59]             // in0 && in1
_v_add_lshl_u32 v141, v2, v4, 0x2                  // scaleToBpe: accumulate d0 lower and *= bpe into Cin addr
v_cndmask_b32 v141, -1, v141, s[58:59]             // LDC clip if OOB. offset
_buffer_load_b32 v142, v141, s[sgprSrdC:sgprSrdC+3], 0, offen offset:0 // load C for beta calc
_v_add_lshl_u32 v141, v3, v4, 0x2                  // scaleToBpe: accumulate d0 lower and *= bpe into Cin addr
v_cndmask_b32 v141, -1, v141, s[58:59]             // LDD clip if OOB. offset
/* (d1,vc1,d0,vc0)=(0,0,11,1) */
s_mov_b32 s54, 89                                  // coordOffset0 d0=11 vc0=1
_v_add_co_u32 v4, vcc, v0, s54                     // coord0.2: coord0 += d0*sg0*VW + vc0
v_cmp_lt_u32 s[54:55], v4, s[sgprSizeI]            // coord0 < size0
v_cmp_lt_u32 s[58:59], v1, s[sgprSizeJ]            // coord1 < size1
s_and_b64 s[58:59], s[54:55], s[58:59]             // in0 && in1
_v_add_lshl_u32 v144, v2, v4, 0x2                  // scaleToBpe: accumulate d0 lower and *= bpe into Cin addr
v_cndmask_b32 v144, -1, v144, s[58:59]             // LDC clip if OOB. offset
_buffer_load_b32 v145, v144, s[sgprSrdC:sgprSrdC+3], 0, offen offset:0 // load C for beta calc
_v_add_lshl_u32 v144, v3, v4, 0x2                  // scaleToBpe: accumulate d0 lower and *= bpe into Cin addr
v_cndmask_b32 v144, -1, v144, s[58:59]             // LDD clip if OOB. offset
/* (d1,vc1,d0,vc0)=(0,0,11,2) */
s_mov_b32 s54, 90                                  // coordOffset0 d0=11 vc0=2
_v_add_co_u32 v4, vcc, v0, s54                     // coord0.2: coord0 += d0*sg0*VW + vc0
v_cmp_lt_u32 s[54:55], v4, s[sgprSizeI]            // coord0 < size0
v_cmp_lt_u32 s[58:59], v1, s[sgprSizeJ]            // coord1 < size1
s_and_b64 s[58:59], s[54:55], s[58:59]             // in0 && in1
_v_add_lshl_u32 v147, v2, v4, 0x2                  // scaleToBpe: accumulate d0 lower and *= bpe into Cin addr
v_cndmask_b32 v147, -1, v147, s[58:59]             // LDC clip if OOB. offset
_buffer_load_b32 v148, v147, s[sgprSrdC:sgprSrdC+3], 0, offen offset:0 // load C for beta calc
_v_add_lshl_u32 v147, v3, v4, 0x2                  // scaleToBpe: accumulate d0 lower and *= bpe into Cin addr
v_cndmask_b32 v147, -1, v147, s[58:59]             // LDD clip if OOB. offset
/* (d1,vc1,d0,vc0)=(0,0,11,3) */
s_mov_b32 s54, 91                                  // coordOffset0 d0=11 vc0=3
_v_add_co_u32 v4, vcc, v0, s54                     // coord0.2: coord0 += d0*sg0*VW + vc0
v_cmp_lt_u32 s[54:55], v4, s[sgprSizeI]            // coord0 < size0
v_cmp_lt_u32 s[58:59], v1, s[sgprSizeJ]            // coord1 < size1
s_and_b64 s[58:59], s[54:55], s[58:59]             // in0 && in1
_v_add_lshl_u32 v150, v2, v4, 0x2                  // scaleToBpe: accumulate d0 lower and *= bpe into Cin addr
v_cndmask_b32 v150, -1, v150, s[58:59]             // LDC clip if OOB. offset
_buffer_load_b32 v151, v150, s[sgprSrdC:sgprSrdC+3], 0, offen offset:0 // load C for beta calc
_v_add_lshl_u32 v150, v3, v4, 0x2                  // scaleToBpe: accumulate d0 lower and *= bpe into Cin addr
v_cndmask_b32 v150, -1, v150, s[58:59]             // LDD clip if OOB. offset
/* (d1,vc1,d0,vc0)=(0,0,12,0) */
s_mov_b32 s54, 96                                  // coordOffset0 d0=12 vc0=0
_v_add_co_u32 v4, vcc, v0, s54                     // coord0.2: coord0 += d0*sg0*VW + vc0
v_cmp_lt_u32 s[54:55], v4, s[sgprSizeI]            // coord0 < size0
v_cmp_lt_u32 s[58:59], v1, s[sgprSizeJ]            // coord1 < size1
s_and_b64 s[58:59], s[54:55], s[58:59]             // in0 && in1
_v_add_lshl_u32 v153, v2, v4, 0x2                  // scaleToBpe: accumulate d0 lower and *= bpe into Cin addr
v_cndmask_b32 v153, -1, v153, s[58:59]             // LDC clip if OOB. offset
_buffer_load_b32 v154, v153, s[sgprSrdC:sgprSrdC+3], 0, offen offset:0 // load C for beta calc
_v_add_lshl_u32 v153, v3, v4, 0x2                  // scaleToBpe: accumulate d0 lower and *= bpe into Cin addr
v_cndmask_b32 v153, -1, v153, s[58:59]             // LDD clip if OOB. offset
/* (d1,vc1,d0,vc0)=(0,0,12,1) */
s_mov_b32 s54, 97                                  // coordOffset0 d0=12 vc0=1
_v_add_co_u32 v4, vcc, v0, s54                     // coord0.2: coord0 += d0*sg0*VW + vc0
v_cmp_lt_u32 s[54:55], v4, s[sgprSizeI]            // coord0 < size0
v_cmp_lt_u32 s[58:59], v1, s[sgprSizeJ]            // coord1 < size1
s_and_b64 s[58:59], s[54:55], s[58:59]             // in0 && in1
_v_add_lshl_u32 v156, v2, v4, 0x2                  // scaleToBpe: accumulate d0 lower and *= bpe into Cin addr
v_cndmask_b32 v156, -1, v156, s[58:59]             // LDC clip if OOB. offset
_buffer_load_b32 v157, v156, s[sgprSrdC:sgprSrdC+3], 0, offen offset:0 // load C for beta calc
_v_add_lshl_u32 v156, v3, v4, 0x2                  // scaleToBpe: accumulate d0 lower and *= bpe into Cin addr
v_cndmask_b32 v156, -1, v156, s[58:59]             // LDD clip if OOB. offset
/* (d1,vc1,d0,vc0)=(0,0,12,2) */
s_mov_b32 s54, 98                                  // coordOffset0 d0=12 vc0=2
_v_add_co_u32 v4, vcc, v0, s54                     // coord0.2: coord0 += d0*sg0*VW + vc0
v_cmp_lt_u32 s[54:55], v4, s[sgprSizeI]            // coord0 < size0
v_cmp_lt_u32 s[58:59], v1, s[sgprSizeJ]            // coord1 < size1
s_and_b64 s[58:59], s[54:55], s[58:59]             // in0 && in1
_v_add_lshl_u32 v159, v2, v4, 0x2                  // scaleToBpe: accumulate d0 lower and *= bpe into Cin addr
v_cndmask_b32 v159, -1, v159, s[58:59]             // LDC clip if OOB. offset
_buffer_load_b32 v160, v159, s[sgprSrdC:sgprSrdC+3], 0, offen offset:0 // load C for beta calc
_v_add_lshl_u32 v159, v3, v4, 0x2                  // scaleToBpe: accumulate d0 lower and *= bpe into Cin addr
v_cndmask_b32 v159, -1, v159, s[58:59]             // LDD clip if OOB. offset
/* (d1,vc1,d0,vc0)=(0,0,12,3) */
s_mov_b32 s54, 99                                  // coordOffset0 d0=12 vc0=3
_v_add_co_u32 v4, vcc, v0, s54                     // coord0.2: coord0 += d0*sg0*VW + vc0
v_cmp_lt_u32 s[54:55], v4, s[sgprSizeI]            // coord0 < size0
v_cmp_lt_u32 s[58:59], v1, s[sgprSizeJ]            // coord1 < size1
s_and_b64 s[58:59], s[54:55], s[58:59]             // in0 && in1
_v_add_lshl_u32 v162, v2, v4, 0x2                  // scaleToBpe: accumulate d0 lower and *= bpe into Cin addr
v_cndmask_b32 v162, -1, v162, s[58:59]             // LDC clip if OOB. offset
_buffer_load_b32 v163, v162, s[sgprSrdC:sgprSrdC+3], 0, offen offset:0 // load C for beta calc
_v_add_lshl_u32 v162, v3, v4, 0x2                  // scaleToBpe: accumulate d0 lower and *= bpe into Cin addr
v_cndmask_b32 v162, -1, v162, s[58:59]             // LDD clip if OOB. offset
/* (d1,vc1,d0,vc0)=(0,0,13,0) */
s_mov_b32 s54, 104                                 // coordOffset0 d0=13 vc0=0
_v_add_co_u32 v4, vcc, v0, s54                     // coord0.2: coord0 += d0*sg0*VW + vc0
v_cmp_lt_u32 s[54:55], v4, s[sgprSizeI]            // coord0 < size0
v_cmp_lt_u32 s[58:59], v1, s[sgprSizeJ]            // coord1 < size1
s_and_b64 s[58:59], s[54:55], s[58:59]             // in0 && in1
_v_add_lshl_u32 v165, v2, v4, 0x2                  // scaleToBpe: accumulate d0 lower and *= bpe into Cin addr
v_cndmask_b32 v165, -1, v165, s[58:59]             // LDC clip if OOB. offset
_buffer_load_b32 v166, v165, s[sgprSrdC:sgprSrdC+3], 0, offen offset:0 // load C for beta calc
_v_add_lshl_u32 v165, v3, v4, 0x2                  // scaleToBpe: accumulate d0 lower and *= bpe into Cin addr
v_cndmask_b32 v165, -1, v165, s[58:59]             // LDD clip if OOB. offset
/* (d1,vc1,d0,vc0)=(0,0,13,1) */
s_mov_b32 s54, 105                                 // coordOffset0 d0=13 vc0=1
_v_add_co_u32 v4, vcc, v0, s54                     // coord0.2: coord0 += d0*sg0*VW + vc0
	;; [unrolled: 11-line block ×29, first 2 shown]
v_cmp_lt_u32 s[54:55], v4, s[sgprSizeI]            // coord0 < size0
v_cmp_lt_u32 s[58:59], v1, s[sgprSizeJ]            // coord1 < size1
s_and_b64 s[58:59], s[54:55], s[58:59]             // in0 && in1
_v_add_lshl_u32 v249, v2, v4, 0x2                  // scaleToBpe: accumulate d0 lower and *= bpe into Cin addr
v_cndmask_b32 v249, -1, v249, s[58:59]             // LDC clip if OOB. offset
_buffer_load_b32 v250, v249, s[sgprSrdC:sgprSrdC+3], 0, offen offset:0 // load C for beta calc
_v_add_lshl_u32 v249, v3, v4, 0x2                  // scaleToBpe: accumulate d0 lower and *= bpe into Cin addr
v_cndmask_b32 v249, -1, v249, s[58:59]             // LDD clip if OOB. offset
v_accvgpr_read_b32 v[vgprValuC+8], acc0 // copy acc to vreg[0]
v_accvgpr_read_b32 v[vgprValuC+11], acc1 // copy acc to vreg[1]
v_accvgpr_read_b32 v[vgprValuC+14], acc2 // copy acc to vreg[2]
v_accvgpr_read_b32 v[vgprValuC+17], acc3 // copy acc to vreg[3]
v_accvgpr_read_b32 v[vgprValuC+20], acc4 // copy acc to vreg[4]
v_accvgpr_read_b32 v[vgprValuC+23], acc5 // copy acc to vreg[5]
v_accvgpr_read_b32 v[vgprValuC+26], acc6 // copy acc to vreg[6]
v_accvgpr_read_b32 v[vgprValuC+29], acc7 // copy acc to vreg[7]
v_accvgpr_read_b32 v[vgprValuC+32], acc8 // copy acc to vreg[8]
v_accvgpr_read_b32 v[vgprValuC+35], acc9 // copy acc to vreg[9]
v_accvgpr_read_b32 v[vgprValuC+41], acc10 // copy acc to vreg[10]
v_accvgpr_read_b32 v[vgprValuC+44], acc11 // copy acc to vreg[11]
v_accvgpr_read_b32 v[vgprValuC+47], acc12 // copy acc to vreg[12]
v_accvgpr_read_b32 v[vgprValuC+50], acc13 // copy acc to vreg[13]
v_accvgpr_read_b32 v[vgprValuC+53], acc14 // copy acc to vreg[14]
v_accvgpr_read_b32 v[vgprValuC+56], acc15 // copy acc to vreg[15]
v_accvgpr_read_b32 v[vgprValuC+59], acc16 // copy acc to vreg[16]
v_accvgpr_read_b32 v[vgprValuC+62], acc17 // copy acc to vreg[17]
v_accvgpr_read_b32 v[vgprValuC+65], acc18 // copy acc to vreg[18]
v_accvgpr_read_b32 v[vgprValuC+68], acc19 // copy acc to vreg[19]
v_accvgpr_read_b32 v[vgprValuC+71], acc20 // copy acc to vreg[20]
v_accvgpr_read_b32 v[vgprValuC+74], acc21 // copy acc to vreg[21]
v_accvgpr_read_b32 v[vgprValuC+77], acc22 // copy acc to vreg[22]
v_accvgpr_read_b32 v[vgprValuC+80], acc23 // copy acc to vreg[23]
v_accvgpr_read_b32 v[vgprValuC+83], acc24 // copy acc to vreg[24]
v_accvgpr_read_b32 v[vgprValuC+86], acc25 // copy acc to vreg[25]
v_accvgpr_read_b32 v[vgprValuC+89], acc26 // copy acc to vreg[26]
v_accvgpr_read_b32 v[vgprValuC+92], acc27 // copy acc to vreg[27]
v_accvgpr_read_b32 v[vgprValuC+95], acc28 // copy acc to vreg[28]
v_accvgpr_read_b32 v[vgprValuC+98], acc29 // copy acc to vreg[29]
v_accvgpr_read_b32 v[vgprValuC+101], acc30 // copy acc to vreg[30]
v_accvgpr_read_b32 v[vgprValuC+104], acc31 // copy acc to vreg[31]
v_accvgpr_read_b32 v[vgprValuC+107], acc32 // copy acc to vreg[32]
v_accvgpr_read_b32 v[vgprValuC+110], acc33 // copy acc to vreg[33]
v_accvgpr_read_b32 v[vgprValuC+113], acc34 // copy acc to vreg[34]
v_accvgpr_read_b32 v[vgprValuC+116], acc35 // copy acc to vreg[35]
v_accvgpr_read_b32 v[vgprValuC+119], acc36 // copy acc to vreg[36]
v_accvgpr_read_b32 v[vgprValuC+122], acc37 // copy acc to vreg[37]
v_accvgpr_read_b32 v[vgprValuC+125], acc38 // copy acc to vreg[38]
v_accvgpr_read_b32 v[vgprValuC+128], acc39 // copy acc to vreg[39]
v_accvgpr_read_b32 v[vgprValuC+131], acc40 // copy acc to vreg[40]
v_accvgpr_read_b32 v[vgprValuC+134], acc41 // copy acc to vreg[41]
v_accvgpr_read_b32 v[vgprValuC+137], acc42 // copy acc to vreg[42]
v_accvgpr_read_b32 v[vgprValuC+140], acc43 // copy acc to vreg[43]
v_accvgpr_read_b32 v[vgprValuC+143], acc44 // copy acc to vreg[44]
v_accvgpr_read_b32 v[vgprValuC+146], acc45 // copy acc to vreg[45]
v_accvgpr_read_b32 v[vgprValuC+149], acc46 // copy acc to vreg[46]
v_accvgpr_read_b32 v[vgprValuC+152], acc47 // copy acc to vreg[47]
v_accvgpr_read_b32 v[vgprValuC+155], acc48 // copy acc to vreg[48]
v_accvgpr_read_b32 v[vgprValuC+158], acc49 // copy acc to vreg[49]
v_accvgpr_read_b32 v[vgprValuC+161], acc50 // copy acc to vreg[50]
v_accvgpr_read_b32 v[vgprValuC+164], acc51 // copy acc to vreg[51]
v_accvgpr_read_b32 v[vgprValuC+167], acc52 // copy acc to vreg[52]
v_accvgpr_read_b32 v[vgprValuC+170], acc53 // copy acc to vreg[53]
v_accvgpr_read_b32 v[vgprValuC+173], acc54 // copy acc to vreg[54]
v_accvgpr_read_b32 v[vgprValuC+176], acc55 // copy acc to vreg[55]
v_accvgpr_read_b32 v[vgprValuC+179], acc56 // copy acc to vreg[56]
v_accvgpr_read_b32 v[vgprValuC+182], acc57 // copy acc to vreg[57]
v_accvgpr_read_b32 v[vgprValuC+185], acc58 // copy acc to vreg[58]
v_accvgpr_read_b32 v[vgprValuC+188], acc59 // copy acc to vreg[59]
v_accvgpr_read_b32 v[vgprValuC+191], acc60 // copy acc to vreg[60]
v_accvgpr_read_b32 v[vgprValuC+194], acc61 // copy acc to vreg[61]
v_accvgpr_read_b32 v[vgprValuC+197], acc62 // copy acc to vreg[62]
v_accvgpr_read_b32 v[vgprValuC+200], acc63 // copy acc to vreg[63]
v_accvgpr_read_b32 v[vgprValuC+203], acc64 // copy acc to vreg[64]
v_accvgpr_read_b32 v[vgprValuC+206], acc65 // copy acc to vreg[65]
v_accvgpr_read_b32 v[vgprValuC+209], acc66 // copy acc to vreg[66]
v_accvgpr_read_b32 v[vgprValuC+212], acc67 // copy acc to vreg[67]
v_accvgpr_read_b32 v[vgprValuC+215], acc68 // copy acc to vreg[68]
v_accvgpr_read_b32 v[vgprValuC+218], acc69 // copy acc to vreg[69]
v_accvgpr_read_b32 v[vgprValuC+221], acc70 // copy acc to vreg[70]
v_accvgpr_read_b32 v[vgprValuC+224], acc71 // copy acc to vreg[71]
v_accvgpr_read_b32 v[vgprValuC+227], acc72 // copy acc to vreg[72]
v_accvgpr_read_b32 v[vgprValuC+230], acc73 // copy acc to vreg[73]
v_accvgpr_read_b32 v[vgprValuC+233], acc74 // copy acc to vreg[74]
v_accvgpr_read_b32 v[vgprValuC+236], acc75 // copy acc to vreg[75]
v_accvgpr_read_b32 v[vgprValuC+239], acc76 // copy acc to vreg[76]
v_accvgpr_read_b32 v[vgprValuC+242], acc77 // copy acc to vreg[77]
v_accvgpr_read_b32 v[vgprValuC+245], acc78 // copy acc to vreg[78]
v_accvgpr_read_b32 v[vgprValuC+248], acc79 // copy acc to vreg[79]
v_accvgpr_read_b32 v[vgprValuC+251], acc80 // copy acc to vreg[80]
s_nop 1                                            // 2 wait states required before reading vgpr

/* rC *= alpha batchElements=[(0, 0, 0, 0), (0, 0, 0, 1), (0, 0, 0, 2), (0, 0, 0, 3), (0, 1, 0, 0), (0, 1, 0, 1), (0, 1, 0, 2), (0, 1, 0, 3), (0, 2, 0, 0), (0, 2, 0, 1), (0, 2, 0, 2), (0, 2, 0, 3), (0, 3, 0, 0), (0, 3, 0, 1), (0, 3, 0, 2), (0, 3, 0, 3), (0, 4, 0, 0), (0, 4, 0, 1), (0, 4, 0, 2), (0, 4, 0, 3), (0, 5, 0, 0), (0, 5, 0, 1), (0, 5, 0, 2), (0, 5, 0, 3), (0, 6, 0, 0), (0, 6, 0, 1), (0, 6, 0, 2), (0, 6, 0, 3), (0, 7, 0, 0), (0, 7, 0, 1), (0, 7, 0, 2), (0, 7, 0, 3), (0, 8, 0, 0), (0, 8, 0, 1), (0, 8, 0, 2), (0, 8, 0, 3), (0, 9, 0, 0), (0, 9, 0, 1), (0, 9, 0, 2), (0, 9, 0, 3), (0, 10, 0, 0), (0, 10, 0, 1), (0, 10, 0, 2), (0, 10, 0, 3), (0, 11, 0, 0), (0, 11, 0, 1), (0, 11, 0, 2), (0, 11, 0, 3), (0, 12, 0, 0), (0, 12, 0, 1), (0, 12, 0, 2), (0, 12, 0, 3), (0, 13, 0, 0), (0, 13, 0, 1), (0, 13, 0, 2), (0, 13, 0, 3), (0, 14, 0, 0), (0, 14, 0, 1), (0, 14, 0, 2), (0, 14, 0, 3), (0, 15, 0, 0), (0, 15, 0, 1), (0, 15, 0, 2), (0, 15, 0, 3), (0, 16, 0, 0), (0, 16, 0, 1), (0, 16, 0, 2), (0, 16, 0, 3), (0, 17, 0, 0), (0, 17, 0, 1), (0, 17, 0, 2), (0, 17, 0, 3), (0, 18, 0, 0), (0, 18, 0, 1), (0, 18, 0, 2), (0, 18, 0, 3), (0, 19, 0, 0), (0, 19, 0, 1), (0, 19, 0, 2), (0, 19, 0, 3), (0, 20, 0, 0)] */
v_mul_f32 v[vgprValuC+8], s[sgprAlpha], v[vgprValuC+8] // *= alpha
v_mul_f32 v[vgprValuC+11], s[sgprAlpha], v[vgprValuC+11] // *= alpha
	;; [unrolled: 1-line block ×81, first 2 shown]
s_waitcnt vmcnt(0)                                 // wait C

/* apply mask, calc new C and issue writes */
_v_mac_f32 v[vgprValuC+8], v7, s[sgprBeta]         // finalSum = sum*alpha + C*beta
_buffer_store_b32 v8, v6, s[sgprSrdD:sgprSrdD+3], 0, offen, offset:0 // store D
_v_mac_f32 v[vgprValuC+11], v10, s[sgprBeta]       // finalSum = sum*alpha + C*beta
_buffer_store_b32 v11, v9, s[sgprSrdD:sgprSrdD+3], 0, offen, offset:0 // store D
_v_mac_f32 v[vgprValuC+14], v13, s[sgprBeta]       // finalSum = sum*alpha + C*beta
	;; [unrolled: 2-line block ×29, first 2 shown]
_buffer_store_b32 v98, v96, s[sgprSrdD:sgprSrdD+3], 0, offen, offset:0 // store D
_v_mac_f32 v[vgprValuC+101], v100, s[sgprBeta]     // finalSum = sum*alpha + C*beta
_buffer_store_b32 v101, v99, s[sgprSrdD:sgprSrdD+3], 0, offen, offset:0 // store D
_v_mac_f32 v[vgprValuC+104], v103, s[sgprBeta]     // finalSum = sum*alpha + C*beta
_buffer_store_b32 v104, v102, s[sgprSrdD:sgprSrdD+3], 0, offen, offset:0 // store D
_v_mac_f32 v[vgprValuC+107], v106, s[sgprBeta]     // finalSum = sum*alpha + C*beta
_buffer_store_b32 v107, v105, s[sgprSrdD:sgprSrdD+3], 0, offen, offset:0 // store D
_v_mac_f32 v[vgprValuC+110], v109, s[sgprBeta]     // finalSum = sum*alpha + C*beta
_buffer_store_b32 v110, v108, s[sgprSrdD:sgprSrdD+3], 0, offen, offset:0 // store D
_v_mac_f32 v[vgprValuC+113], v112, s[sgprBeta]     // finalSum = sum*alpha + C*beta
_buffer_store_b32 v113, v111, s[sgprSrdD:sgprSrdD+3], 0, offen, offset:0 // store D
_v_mac_f32 v[vgprValuC+116], v115, s[sgprBeta]     // finalSum = sum*alpha + C*beta
_buffer_store_b32 v116, v114, s[sgprSrdD:sgprSrdD+3], 0, offen, offset:0 // store D
_v_mac_f32 v[vgprValuC+119], v118, s[sgprBeta]     // finalSum = sum*alpha + C*beta
_buffer_store_b32 v119, v117, s[sgprSrdD:sgprSrdD+3], 0, offen, offset:0 // store D
_v_mac_f32 v[vgprValuC+122], v121, s[sgprBeta]     // finalSum = sum*alpha + C*beta
_buffer_store_b32 v122, v120, s[sgprSrdD:sgprSrdD+3], 0, offen, offset:0 // store D
_v_mac_f32 v[vgprValuC+125], v124, s[sgprBeta]     // finalSum = sum*alpha + C*beta
_buffer_store_b32 v125, v123, s[sgprSrdD:sgprSrdD+3], 0, offen, offset:0 // store D
_v_mac_f32 v[vgprValuC+128], v127, s[sgprBeta]     // finalSum = sum*alpha + C*beta
_buffer_store_b32 v128, v126, s[sgprSrdD:sgprSrdD+3], 0, offen, offset:0 // store D
_v_mac_f32 v[vgprValuC+131], v130, s[sgprBeta]     // finalSum = sum*alpha + C*beta
_buffer_store_b32 v131, v129, s[sgprSrdD:sgprSrdD+3], 0, offen, offset:0 // store D
_v_mac_f32 v[vgprValuC+134], v133, s[sgprBeta]     // finalSum = sum*alpha + C*beta
_buffer_store_b32 v134, v132, s[sgprSrdD:sgprSrdD+3], 0, offen, offset:0 // store D
_v_mac_f32 v[vgprValuC+137], v136, s[sgprBeta]     // finalSum = sum*alpha + C*beta
_buffer_store_b32 v137, v135, s[sgprSrdD:sgprSrdD+3], 0, offen, offset:0 // store D
_v_mac_f32 v[vgprValuC+140], v139, s[sgprBeta]     // finalSum = sum*alpha + C*beta
_buffer_store_b32 v140, v138, s[sgprSrdD:sgprSrdD+3], 0, offen, offset:0 // store D
_v_mac_f32 v[vgprValuC+143], v142, s[sgprBeta]     // finalSum = sum*alpha + C*beta
_buffer_store_b32 v143, v141, s[sgprSrdD:sgprSrdD+3], 0, offen, offset:0 // store D
_v_mac_f32 v[vgprValuC+146], v145, s[sgprBeta]     // finalSum = sum*alpha + C*beta
_buffer_store_b32 v146, v144, s[sgprSrdD:sgprSrdD+3], 0, offen, offset:0 // store D
_v_mac_f32 v[vgprValuC+149], v148, s[sgprBeta]     // finalSum = sum*alpha + C*beta
_buffer_store_b32 v149, v147, s[sgprSrdD:sgprSrdD+3], 0, offen, offset:0 // store D
_v_mac_f32 v[vgprValuC+152], v151, s[sgprBeta]     // finalSum = sum*alpha + C*beta
_buffer_store_b32 v152, v150, s[sgprSrdD:sgprSrdD+3], 0, offen, offset:0 // store D
_v_mac_f32 v[vgprValuC+155], v154, s[sgprBeta]     // finalSum = sum*alpha + C*beta
_buffer_store_b32 v155, v153, s[sgprSrdD:sgprSrdD+3], 0, offen, offset:0 // store D
_v_mac_f32 v[vgprValuC+158], v157, s[sgprBeta]     // finalSum = sum*alpha + C*beta
_buffer_store_b32 v158, v156, s[sgprSrdD:sgprSrdD+3], 0, offen, offset:0 // store D
_v_mac_f32 v[vgprValuC+161], v160, s[sgprBeta]     // finalSum = sum*alpha + C*beta
_buffer_store_b32 v161, v159, s[sgprSrdD:sgprSrdD+3], 0, offen, offset:0 // store D
_v_mac_f32 v[vgprValuC+164], v163, s[sgprBeta]     // finalSum = sum*alpha + C*beta
_buffer_store_b32 v164, v162, s[sgprSrdD:sgprSrdD+3], 0, offen, offset:0 // store D
_v_mac_f32 v[vgprValuC+167], v166, s[sgprBeta]     // finalSum = sum*alpha + C*beta
_buffer_store_b32 v167, v165, s[sgprSrdD:sgprSrdD+3], 0, offen, offset:0 // store D
_v_mac_f32 v[vgprValuC+170], v169, s[sgprBeta]     // finalSum = sum*alpha + C*beta
_buffer_store_b32 v170, v168, s[sgprSrdD:sgprSrdD+3], 0, offen, offset:0 // store D
_v_mac_f32 v[vgprValuC+173], v172, s[sgprBeta]     // finalSum = sum*alpha + C*beta
_buffer_store_b32 v173, v171, s[sgprSrdD:sgprSrdD+3], 0, offen, offset:0 // store D
_v_mac_f32 v[vgprValuC+176], v175, s[sgprBeta]     // finalSum = sum*alpha + C*beta
_buffer_store_b32 v176, v174, s[sgprSrdD:sgprSrdD+3], 0, offen, offset:0 // store D
_v_mac_f32 v[vgprValuC+179], v178, s[sgprBeta]     // finalSum = sum*alpha + C*beta
_buffer_store_b32 v179, v177, s[sgprSrdD:sgprSrdD+3], 0, offen, offset:0 // store D
_v_mac_f32 v[vgprValuC+182], v181, s[sgprBeta]     // finalSum = sum*alpha + C*beta
_buffer_store_b32 v182, v180, s[sgprSrdD:sgprSrdD+3], 0, offen, offset:0 // store D
_v_mac_f32 v[vgprValuC+185], v184, s[sgprBeta]     // finalSum = sum*alpha + C*beta
_buffer_store_b32 v185, v183, s[sgprSrdD:sgprSrdD+3], 0, offen, offset:0 // store D
_v_mac_f32 v[vgprValuC+188], v187, s[sgprBeta]     // finalSum = sum*alpha + C*beta
_buffer_store_b32 v188, v186, s[sgprSrdD:sgprSrdD+3], 0, offen, offset:0 // store D
_v_mac_f32 v[vgprValuC+191], v190, s[sgprBeta]     // finalSum = sum*alpha + C*beta
_buffer_store_b32 v191, v189, s[sgprSrdD:sgprSrdD+3], 0, offen, offset:0 // store D
_v_mac_f32 v[vgprValuC+194], v193, s[sgprBeta]     // finalSum = sum*alpha + C*beta
_buffer_store_b32 v194, v192, s[sgprSrdD:sgprSrdD+3], 0, offen, offset:0 // store D
_v_mac_f32 v[vgprValuC+197], v196, s[sgprBeta]     // finalSum = sum*alpha + C*beta
_buffer_store_b32 v197, v195, s[sgprSrdD:sgprSrdD+3], 0, offen, offset:0 // store D
_v_mac_f32 v[vgprValuC+200], v199, s[sgprBeta]     // finalSum = sum*alpha + C*beta
_buffer_store_b32 v200, v198, s[sgprSrdD:sgprSrdD+3], 0, offen, offset:0 // store D
_v_mac_f32 v[vgprValuC+203], v202, s[sgprBeta]     // finalSum = sum*alpha + C*beta
_buffer_store_b32 v203, v201, s[sgprSrdD:sgprSrdD+3], 0, offen, offset:0 // store D
_v_mac_f32 v[vgprValuC+206], v205, s[sgprBeta]     // finalSum = sum*alpha + C*beta
_buffer_store_b32 v206, v204, s[sgprSrdD:sgprSrdD+3], 0, offen, offset:0 // store D
_v_mac_f32 v[vgprValuC+209], v208, s[sgprBeta]     // finalSum = sum*alpha + C*beta
_buffer_store_b32 v209, v207, s[sgprSrdD:sgprSrdD+3], 0, offen, offset:0 // store D
_v_mac_f32 v[vgprValuC+212], v211, s[sgprBeta]     // finalSum = sum*alpha + C*beta
_buffer_store_b32 v212, v210, s[sgprSrdD:sgprSrdD+3], 0, offen, offset:0 // store D
_v_mac_f32 v[vgprValuC+215], v214, s[sgprBeta]     // finalSum = sum*alpha + C*beta
_buffer_store_b32 v215, v213, s[sgprSrdD:sgprSrdD+3], 0, offen, offset:0 // store D
_v_mac_f32 v[vgprValuC+218], v217, s[sgprBeta]     // finalSum = sum*alpha + C*beta
_buffer_store_b32 v218, v216, s[sgprSrdD:sgprSrdD+3], 0, offen, offset:0 // store D
_v_mac_f32 v[vgprValuC+221], v220, s[sgprBeta]     // finalSum = sum*alpha + C*beta
_buffer_store_b32 v221, v219, s[sgprSrdD:sgprSrdD+3], 0, offen, offset:0 // store D
_v_mac_f32 v[vgprValuC+224], v223, s[sgprBeta]     // finalSum = sum*alpha + C*beta
_buffer_store_b32 v224, v222, s[sgprSrdD:sgprSrdD+3], 0, offen, offset:0 // store D
_v_mac_f32 v[vgprValuC+227], v226, s[sgprBeta]     // finalSum = sum*alpha + C*beta
_buffer_store_b32 v227, v225, s[sgprSrdD:sgprSrdD+3], 0, offen, offset:0 // store D
_v_mac_f32 v[vgprValuC+230], v229, s[sgprBeta]     // finalSum = sum*alpha + C*beta
_buffer_store_b32 v230, v228, s[sgprSrdD:sgprSrdD+3], 0, offen, offset:0 // store D
_v_mac_f32 v[vgprValuC+233], v232, s[sgprBeta]     // finalSum = sum*alpha + C*beta
_buffer_store_b32 v233, v231, s[sgprSrdD:sgprSrdD+3], 0, offen, offset:0 // store D
_v_mac_f32 v[vgprValuC+236], v235, s[sgprBeta]     // finalSum = sum*alpha + C*beta
_buffer_store_b32 v236, v234, s[sgprSrdD:sgprSrdD+3], 0, offen, offset:0 // store D
_v_mac_f32 v[vgprValuC+239], v238, s[sgprBeta]     // finalSum = sum*alpha + C*beta
_buffer_store_b32 v239, v237, s[sgprSrdD:sgprSrdD+3], 0, offen, offset:0 // store D
_v_mac_f32 v[vgprValuC+242], v241, s[sgprBeta]     // finalSum = sum*alpha + C*beta
_buffer_store_b32 v242, v240, s[sgprSrdD:sgprSrdD+3], 0, offen, offset:0 // store D
_v_mac_f32 v[vgprValuC+245], v244, s[sgprBeta]     // finalSum = sum*alpha + C*beta
_buffer_store_b32 v245, v243, s[sgprSrdD:sgprSrdD+3], 0, offen, offset:0 // store D
_v_mac_f32 v[vgprValuC+248], v247, s[sgprBeta]     // finalSum = sum*alpha + C*beta
_buffer_store_b32 v248, v246, s[sgprSrdD:sgprSrdD+3], 0, offen, offset:0 // store D
_v_mac_f32 v[vgprValuC+251], v250, s[sgprBeta]     // finalSum = sum*alpha + C*beta
_buffer_store_b32 v251, v249, s[sgprSrdD:sgprSrdD+3], 0, offen, offset:0 // store D
s_nop 0                                            // 1 wait state required when next inst writes vgprs held by previous dwordx4 store inst
/* optSingleColVgpr=0 optSharedColVgpr=0 optSGPRUsage=BufferLoad_Edge_Mask optSrdIncForRow=0 */

/******************************************/
/* Global Write Alpha Beta Edge Batch #1 (d1,d0,vc1,vc0) = */
/*    (0,20,0,1:vw1); (0,20,0,2:vw1); (0,20,0,3:vw1); (0,21,0,0:vw1); (0,21,0,1:vw1); (0,21,0,2:vw1); (0,21,0,3:vw1); (0,22,0,0:vw1); (0,22,0,1:vw1); (0,22,0,2:vw1); (0,22,0,3:vw1); (0,23,0,0:vw1); (0,23,0,1:vw1); (0,23,0,2:vw1); (0,23,0,3:vw1); (0,24,0,0:vw1); (0,24,0,1:vw1); (0,24,0,2:vw1); (0,24,0,3:vw1); (0,25,0,0:vw1); (0,25,0,1:vw1); (0,25,0,2:vw1); (0,25,0,3:vw1); (0,26,0,0:vw1); (0,26,0,1:vw1); (0,26,0,2:vw1); (0,26,0,3:vw1); (0,27,0,0:vw1); (0,27,0,1:vw1); (0,27,0,2:vw1); (0,27,0,3:vw1); (0,28,0,0:vw1); (0,28,0,1:vw1); (0,28,0,2:vw1); (0,28,0,3:vw1); (0,29,0,0:vw1); (0,29,0,1:vw1); (0,29,0,2:vw1); (0,29,0,3:vw1); (0,30,0,0:vw1); (0,30,0,1:vw1); (0,30,0,2:vw1); (0,30,0,3:vw1); (0,31,0,0:vw1); (0,31,0,1:vw1); (0,31,0,2:vw1); (0,31,0,3:vw1); (0,32,0,0:vw1); (0,32,0,1:vw1); (0,32,0,2:vw1); (0,32,0,3:vw1); (0,33,0,0:vw1); (0,33,0,1:vw1); (0,33,0,2:vw1); (0,33,0,3:vw1); (0,34,0,0:vw1); (0,34,0,1:vw1); (0,34,0,2:vw1); (0,34,0,3:vw1); (0,35,0,0:vw1); (0,35,0,1:vw1); (0,35,0,2:vw1); (0,35,0,3:vw1) */
/******************************************/

/* calc coords, apply mask, and issue loads (if necessary) */
/* (d1,vc1,d0,vc0)=(0,0,20,1) */
s_mov_b32 s54, 161                                 // coordOffset0 d0=20 vc0=1
_v_add_co_u32 v4, vcc, v0, s54                     // coord0.2: coord0 += d0*sg0*VW + vc0
v_cmp_lt_u32 s[54:55], v4, s[sgprSizeI]            // coord0 < size0
v_cmp_lt_u32 s[58:59], v1, s[sgprSizeJ]            // coord1 < size1
s_and_b64 s[58:59], s[54:55], s[58:59]             // in0 && in1
_v_add_lshl_u32 v6, v2, v4, 0x2                    // scaleToBpe: accumulate d0 lower and *= bpe into Cin addr
v_cndmask_b32 v6, -1, v6, s[58:59]                 // LDC clip if OOB. offset
_buffer_load_b32 v7, v6, s[sgprSrdC:sgprSrdC+3], 0, offen offset:0 // load C for beta calc
_v_add_lshl_u32 v6, v3, v4, 0x2                    // scaleToBpe: accumulate d0 lower and *= bpe into Cin addr
v_cndmask_b32 v6, -1, v6, s[58:59]                 // LDD clip if OOB. offset
/* (d1,vc1,d0,vc0)=(0,0,20,2) */
s_mov_b32 s54, 162                                 // coordOffset0 d0=20 vc0=2
_v_add_co_u32 v4, vcc, v0, s54                     // coord0.2: coord0 += d0*sg0*VW + vc0
v_cmp_lt_u32 s[54:55], v4, s[sgprSizeI]            // coord0 < size0
v_cmp_lt_u32 s[58:59], v1, s[sgprSizeJ]            // coord1 < size1
s_and_b64 s[58:59], s[54:55], s[58:59]             // in0 && in1
_v_add_lshl_u32 v9, v2, v4, 0x2                    // scaleToBpe: accumulate d0 lower and *= bpe into Cin addr
v_cndmask_b32 v9, -1, v9, s[58:59]                 // LDC clip if OOB. offset
_buffer_load_b32 v10, v9, s[sgprSrdC:sgprSrdC+3], 0, offen offset:0 // load C for beta calc
_v_add_lshl_u32 v9, v3, v4, 0x2                    // scaleToBpe: accumulate d0 lower and *= bpe into Cin addr
v_cndmask_b32 v9, -1, v9, s[58:59]                 // LDD clip if OOB. offset
/* (d1,vc1,d0,vc0)=(0,0,20,3) */
s_mov_b32 s54, 163                                 // coordOffset0 d0=20 vc0=3
_v_add_co_u32 v4, vcc, v0, s54                     // coord0.2: coord0 += d0*sg0*VW + vc0
v_cmp_lt_u32 s[54:55], v4, s[sgprSizeI]            // coord0 < size0
v_cmp_lt_u32 s[58:59], v1, s[sgprSizeJ]            // coord1 < size1
s_and_b64 s[58:59], s[54:55], s[58:59]             // in0 && in1
_v_add_lshl_u32 v12, v2, v4, 0x2                   // scaleToBpe: accumulate d0 lower and *= bpe into Cin addr
v_cndmask_b32 v12, -1, v12, s[58:59]               // LDC clip if OOB. offset
_buffer_load_b32 v13, v12, s[sgprSrdC:sgprSrdC+3], 0, offen offset:0 // load C for beta calc
_v_add_lshl_u32 v12, v3, v4, 0x2                   // scaleToBpe: accumulate d0 lower and *= bpe into Cin addr
v_cndmask_b32 v12, -1, v12, s[58:59]               // LDD clip if OOB. offset
/* (d1,vc1,d0,vc0)=(0,0,21,0) */
s_mov_b32 s54, 168                                 // coordOffset0 d0=21 vc0=0
_v_add_co_u32 v4, vcc, v0, s54                     // coord0.2: coord0 += d0*sg0*VW + vc0
v_cmp_lt_u32 s[54:55], v4, s[sgprSizeI]            // coord0 < size0
v_cmp_lt_u32 s[58:59], v1, s[sgprSizeJ]            // coord1 < size1
s_and_b64 s[58:59], s[54:55], s[58:59]             // in0 && in1
_v_add_lshl_u32 v15, v2, v4, 0x2                   // scaleToBpe: accumulate d0 lower and *= bpe into Cin addr
v_cndmask_b32 v15, -1, v15, s[58:59]               // LDC clip if OOB. offset
_buffer_load_b32 v16, v15, s[sgprSrdC:sgprSrdC+3], 0, offen offset:0 // load C for beta calc
_v_add_lshl_u32 v15, v3, v4, 0x2                   // scaleToBpe: accumulate d0 lower and *= bpe into Cin addr
v_cndmask_b32 v15, -1, v15, s[58:59]               // LDD clip if OOB. offset
	;; [unrolled: 11-line block ×29, first 2 shown]
/* (d1,vc1,d0,vc0)=(0,0,28,0) */
s_mov_b32 s54, 224                                 // coordOffset0 d0=28 vc0=0
_v_add_co_u32 v4, vcc, v0, s54                     // coord0.2: coord0 += d0*sg0*VW + vc0
v_cmp_lt_u32 s[54:55], v4, s[sgprSizeI]            // coord0 < size0
v_cmp_lt_u32 s[58:59], v1, s[sgprSizeJ]            // coord1 < size1
s_and_b64 s[58:59], s[54:55], s[58:59]             // in0 && in1
_v_add_lshl_u32 v102, v2, v4, 0x2                  // scaleToBpe: accumulate d0 lower and *= bpe into Cin addr
v_cndmask_b32 v102, -1, v102, s[58:59]             // LDC clip if OOB. offset
_buffer_load_b32 v103, v102, s[sgprSrdC:sgprSrdC+3], 0, offen offset:0 // load C for beta calc
_v_add_lshl_u32 v102, v3, v4, 0x2                  // scaleToBpe: accumulate d0 lower and *= bpe into Cin addr
v_cndmask_b32 v102, -1, v102, s[58:59]             // LDD clip if OOB. offset
/* (d1,vc1,d0,vc0)=(0,0,28,1) */
s_mov_b32 s54, 225                                 // coordOffset0 d0=28 vc0=1
_v_add_co_u32 v4, vcc, v0, s54                     // coord0.2: coord0 += d0*sg0*VW + vc0
v_cmp_lt_u32 s[54:55], v4, s[sgprSizeI]            // coord0 < size0
v_cmp_lt_u32 s[58:59], v1, s[sgprSizeJ]            // coord1 < size1
s_and_b64 s[58:59], s[54:55], s[58:59]             // in0 && in1
_v_add_lshl_u32 v105, v2, v4, 0x2                  // scaleToBpe: accumulate d0 lower and *= bpe into Cin addr
v_cndmask_b32 v105, -1, v105, s[58:59]             // LDC clip if OOB. offset
_buffer_load_b32 v106, v105, s[sgprSrdC:sgprSrdC+3], 0, offen offset:0 // load C for beta calc
_v_add_lshl_u32 v105, v3, v4, 0x2                  // scaleToBpe: accumulate d0 lower and *= bpe into Cin addr
v_cndmask_b32 v105, -1, v105, s[58:59]             // LDD clip if OOB. offset
	;; [unrolled: 11-line block ×32, first 2 shown]
v_accvgpr_read_b32 v[vgprValuC+8], acc81 // copy acc to vreg[81]
v_accvgpr_read_b32 v[vgprValuC+11], acc82 // copy acc to vreg[82]
v_accvgpr_read_b32 v[vgprValuC+14], acc83 // copy acc to vreg[83]
v_accvgpr_read_b32 v[vgprValuC+17], acc84 // copy acc to vreg[84]
v_accvgpr_read_b32 v[vgprValuC+20], acc85 // copy acc to vreg[85]
v_accvgpr_read_b32 v[vgprValuC+23], acc86 // copy acc to vreg[86]
v_accvgpr_read_b32 v[vgprValuC+26], acc87 // copy acc to vreg[87]
v_accvgpr_read_b32 v[vgprValuC+29], acc88 // copy acc to vreg[88]
v_accvgpr_read_b32 v[vgprValuC+32], acc89 // copy acc to vreg[89]
v_accvgpr_read_b32 v[vgprValuC+35], acc90 // copy acc to vreg[90]
v_accvgpr_read_b32 v[vgprValuC+41], acc91 // copy acc to vreg[91]
v_accvgpr_read_b32 v[vgprValuC+44], acc92 // copy acc to vreg[92]
v_accvgpr_read_b32 v[vgprValuC+47], acc93 // copy acc to vreg[93]
v_accvgpr_read_b32 v[vgprValuC+50], acc94 // copy acc to vreg[94]
v_accvgpr_read_b32 v[vgprValuC+53], acc95 // copy acc to vreg[95]
v_accvgpr_read_b32 v[vgprValuC+56], acc96 // copy acc to vreg[96]
v_accvgpr_read_b32 v[vgprValuC+59], acc97 // copy acc to vreg[97]
v_accvgpr_read_b32 v[vgprValuC+62], acc98 // copy acc to vreg[98]
v_accvgpr_read_b32 v[vgprValuC+65], acc99 // copy acc to vreg[99]
v_accvgpr_read_b32 v[vgprValuC+68], acc100 // copy acc to vreg[100]
v_accvgpr_read_b32 v[vgprValuC+71], acc101 // copy acc to vreg[101]
v_accvgpr_read_b32 v[vgprValuC+74], acc102 // copy acc to vreg[102]
v_accvgpr_read_b32 v[vgprValuC+77], acc103 // copy acc to vreg[103]
v_accvgpr_read_b32 v[vgprValuC+80], acc104 // copy acc to vreg[104]
v_accvgpr_read_b32 v[vgprValuC+83], acc105 // copy acc to vreg[105]
v_accvgpr_read_b32 v[vgprValuC+86], acc106 // copy acc to vreg[106]
v_accvgpr_read_b32 v[vgprValuC+89], acc107 // copy acc to vreg[107]
v_accvgpr_read_b32 v[vgprValuC+92], acc108 // copy acc to vreg[108]
v_accvgpr_read_b32 v[vgprValuC+95], acc109 // copy acc to vreg[109]
v_accvgpr_read_b32 v[vgprValuC+98], acc110 // copy acc to vreg[110]
v_accvgpr_read_b32 v[vgprValuC+101], acc111 // copy acc to vreg[111]
v_accvgpr_read_b32 v[vgprValuC+104], acc112 // copy acc to vreg[112]
v_accvgpr_read_b32 v[vgprValuC+107], acc113 // copy acc to vreg[113]
v_accvgpr_read_b32 v[vgprValuC+110], acc114 // copy acc to vreg[114]
v_accvgpr_read_b32 v[vgprValuC+113], acc115 // copy acc to vreg[115]
v_accvgpr_read_b32 v[vgprValuC+116], acc116 // copy acc to vreg[116]
v_accvgpr_read_b32 v[vgprValuC+119], acc117 // copy acc to vreg[117]
v_accvgpr_read_b32 v[vgprValuC+122], acc118 // copy acc to vreg[118]
v_accvgpr_read_b32 v[vgprValuC+125], acc119 // copy acc to vreg[119]
v_accvgpr_read_b32 v[vgprValuC+128], acc120 // copy acc to vreg[120]
v_accvgpr_read_b32 v[vgprValuC+131], acc121 // copy acc to vreg[121]
v_accvgpr_read_b32 v[vgprValuC+134], acc122 // copy acc to vreg[122]
v_accvgpr_read_b32 v[vgprValuC+137], acc123 // copy acc to vreg[123]
v_accvgpr_read_b32 v[vgprValuC+140], acc124 // copy acc to vreg[124]
v_accvgpr_read_b32 v[vgprValuC+143], acc125 // copy acc to vreg[125]
v_accvgpr_read_b32 v[vgprValuC+146], acc126 // copy acc to vreg[126]
v_accvgpr_read_b32 v[vgprValuC+149], acc127 // copy acc to vreg[127]
v_accvgpr_read_b32 v[vgprValuC+152], acc128 // copy acc to vreg[128]
v_accvgpr_read_b32 v[vgprValuC+155], acc129 // copy acc to vreg[129]
v_accvgpr_read_b32 v[vgprValuC+158], acc130 // copy acc to vreg[130]
v_accvgpr_read_b32 v[vgprValuC+161], acc131 // copy acc to vreg[131]
v_accvgpr_read_b32 v[vgprValuC+164], acc132 // copy acc to vreg[132]
v_accvgpr_read_b32 v[vgprValuC+167], acc133 // copy acc to vreg[133]
v_accvgpr_read_b32 v[vgprValuC+170], acc134 // copy acc to vreg[134]
v_accvgpr_read_b32 v[vgprValuC+173], acc135 // copy acc to vreg[135]
v_accvgpr_read_b32 v[vgprValuC+176], acc136 // copy acc to vreg[136]
v_accvgpr_read_b32 v[vgprValuC+179], acc137 // copy acc to vreg[137]
v_accvgpr_read_b32 v[vgprValuC+182], acc138 // copy acc to vreg[138]
v_accvgpr_read_b32 v[vgprValuC+185], acc139 // copy acc to vreg[139]
v_accvgpr_read_b32 v[vgprValuC+188], acc140 // copy acc to vreg[140]
v_accvgpr_read_b32 v[vgprValuC+191], acc141 // copy acc to vreg[141]
v_accvgpr_read_b32 v[vgprValuC+194], acc142 // copy acc to vreg[142]
v_accvgpr_read_b32 v[vgprValuC+197], acc143 // copy acc to vreg[143]
s_nop 1                                            // 2 wait states required before reading vgpr

/* rC *= alpha batchElements=[(0, 20, 0, 1), (0, 20, 0, 2), (0, 20, 0, 3), (0, 21, 0, 0), (0, 21, 0, 1), (0, 21, 0, 2), (0, 21, 0, 3), (0, 22, 0, 0), (0, 22, 0, 1), (0, 22, 0, 2), (0, 22, 0, 3), (0, 23, 0, 0), (0, 23, 0, 1), (0, 23, 0, 2), (0, 23, 0, 3), (0, 24, 0, 0), (0, 24, 0, 1), (0, 24, 0, 2), (0, 24, 0, 3), (0, 25, 0, 0), (0, 25, 0, 1), (0, 25, 0, 2), (0, 25, 0, 3), (0, 26, 0, 0), (0, 26, 0, 1), (0, 26, 0, 2), (0, 26, 0, 3), (0, 27, 0, 0), (0, 27, 0, 1), (0, 27, 0, 2), (0, 27, 0, 3), (0, 28, 0, 0), (0, 28, 0, 1), (0, 28, 0, 2), (0, 28, 0, 3), (0, 29, 0, 0), (0, 29, 0, 1), (0, 29, 0, 2), (0, 29, 0, 3), (0, 30, 0, 0), (0, 30, 0, 1), (0, 30, 0, 2), (0, 30, 0, 3), (0, 31, 0, 0), (0, 31, 0, 1), (0, 31, 0, 2), (0, 31, 0, 3), (0, 32, 0, 0), (0, 32, 0, 1), (0, 32, 0, 2), (0, 32, 0, 3), (0, 33, 0, 0), (0, 33, 0, 1), (0, 33, 0, 2), (0, 33, 0, 3), (0, 34, 0, 0), (0, 34, 0, 1), (0, 34, 0, 2), (0, 34, 0, 3), (0, 35, 0, 0), (0, 35, 0, 1), (0, 35, 0, 2), (0, 35, 0, 3)] */
v_mul_f32 v[vgprValuC+8], s[sgprAlpha], v[vgprValuC+8] // *= alpha
v_mul_f32 v[vgprValuC+11], s[sgprAlpha], v[vgprValuC+11] // *= alpha
	;; [unrolled: 1-line block ×63, first 2 shown]
s_waitcnt vmcnt(0)                                 // wait C

/* apply mask, calc new C and issue writes */
_v_mac_f32 v[vgprValuC+8], v7, s[sgprBeta]         // finalSum = sum*alpha + C*beta
_buffer_store_b32 v8, v6, s[sgprSrdD:sgprSrdD+3], 0, offen, offset:0 // store D
_v_mac_f32 v[vgprValuC+11], v10, s[sgprBeta]       // finalSum = sum*alpha + C*beta
_buffer_store_b32 v11, v9, s[sgprSrdD:sgprSrdD+3], 0, offen, offset:0 // store D
_v_mac_f32 v[vgprValuC+14], v13, s[sgprBeta]       // finalSum = sum*alpha + C*beta
	;; [unrolled: 2-line block ×29, first 2 shown]
_buffer_store_b32 v98, v96, s[sgprSrdD:sgprSrdD+3], 0, offen, offset:0 // store D
_v_mac_f32 v[vgprValuC+101], v100, s[sgprBeta]     // finalSum = sum*alpha + C*beta
_buffer_store_b32 v101, v99, s[sgprSrdD:sgprSrdD+3], 0, offen, offset:0 // store D
_v_mac_f32 v[vgprValuC+104], v103, s[sgprBeta]     // finalSum = sum*alpha + C*beta
	;; [unrolled: 2-line block ×33, first 2 shown]
_buffer_store_b32 v197, v195, s[sgprSrdD:sgprSrdD+3], 0, offen, offset:0 // store D
s_nop 0                                            // 1 wait state required when next inst writes vgprs held by previous dwordx4 store inst
s_branch label_GW_End_46                           // jump to end
label_GW_End_46:

label_0051:  /// KernelEnd
s_endpgm                                           // Kernel End

